;; amdgpu-corpus repo=ROCm/rocFFT kind=compiled arch=gfx1030 opt=O3
	.text
	.amdgcn_target "amdgcn-amd-amdhsa--gfx1030"
	.amdhsa_code_object_version 6
	.protected	bluestein_single_fwd_len1716_dim1_sp_op_CI_CI ; -- Begin function bluestein_single_fwd_len1716_dim1_sp_op_CI_CI
	.globl	bluestein_single_fwd_len1716_dim1_sp_op_CI_CI
	.p2align	8
	.type	bluestein_single_fwd_len1716_dim1_sp_op_CI_CI,@function
bluestein_single_fwd_len1716_dim1_sp_op_CI_CI: ; @bluestein_single_fwd_len1716_dim1_sp_op_CI_CI
; %bb.0:
	s_load_dwordx4 s[0:3], s[4:5], 0x28
	v_mul_u32_u24_e32 v1, 0x1a5, v0
	v_mov_b32_e32 v61, 0
	v_lshrrev_b32_e32 v1, 16, v1
	v_add_nc_u32_e32 v60, s6, v1
	s_waitcnt lgkmcnt(0)
	v_cmp_gt_u64_e32 vcc_lo, s[0:1], v[60:61]
	s_and_saveexec_b32 s0, vcc_lo
	s_cbranch_execz .LBB0_31
; %bb.1:
	s_clause 0x1
	s_load_dwordx2 s[14:15], s[4:5], 0x0
	s_load_dwordx2 s[12:13], s[4:5], 0x38
	v_mul_lo_u16 v1, 0x9c, v1
	v_sub_nc_u16 v0, v0, v1
	v_and_b32_e32 v84, 0xffff, v0
	v_cmp_gt_u16_e32 vcc_lo, 0x84, v0
	v_lshlrev_b32_e32 v83, 3, v84
	s_and_saveexec_b32 s1, vcc_lo
	s_cbranch_execz .LBB0_3
; %bb.2:
	s_load_dwordx2 s[6:7], s[4:5], 0x18
	s_waitcnt lgkmcnt(0)
	v_add_co_u32 v21, s0, s14, v83
	v_add_co_ci_u32_e64 v22, null, s15, 0, s0
	v_add_nc_u32_e32 v54, 0x800, v83
	v_add_co_u32 v4, s0, 0x800, v21
	v_add_co_ci_u32_e64 v5, s0, 0, v22, s0
	v_add_co_u32 v8, s0, 0x1000, v21
	v_add_co_ci_u32_e64 v9, s0, 0, v22, s0
	;; [unrolled: 2-line block ×3, first 2 shown]
	v_add_co_u32 v14, s0, 0x2000, v21
	s_load_dwordx4 s[8:11], s[6:7], 0x0
	v_add_co_ci_u32_e64 v15, s0, 0, v22, s0
	s_clause 0x1
	global_load_dwordx2 v[0:1], v83, s[14:15]
	global_load_dwordx2 v[2:3], v83, s[14:15] offset:1056
	v_add_nc_u32_e32 v55, 0x1000, v83
	v_add_nc_u32_e32 v56, 0x1800, v83
	;; [unrolled: 1-line block ×4, first 2 shown]
	s_waitcnt lgkmcnt(0)
	v_mad_u64_u32 v[6:7], null, s10, v60, 0
	v_mad_u64_u32 v[10:11], null, s8, v84, 0
	s_mul_i32 s6, s9, 0x420
	s_mul_hi_u32 s7, s8, 0x420
	s_add_i32 s7, s7, s6
	v_mad_u64_u32 v[16:17], null, s11, v60, v[7:8]
	v_mad_u64_u32 v[19:20], null, s9, v84, v[11:12]
	v_add_co_u32 v17, s0, 0x2800, v21
	v_add_co_ci_u32_e64 v18, s0, 0, v22, s0
	v_mov_b32_e32 v7, v16
	v_add_co_u32 v20, s0, 0x3000, v21
	v_mov_b32_e32 v11, v19
	v_add_co_ci_u32_e64 v21, s0, 0, v22, s0
	v_lshlrev_b64 v[6:7], 3, v[6:7]
	s_clause 0x3
	global_load_dwordx2 v[22:23], v[4:5], off offset:64
	global_load_dwordx2 v[4:5], v[4:5], off offset:1120
	;; [unrolled: 1-line block ×4, first 2 shown]
	v_lshlrev_b64 v[10:11], 3, v[10:11]
	s_clause 0x4
	global_load_dwordx2 v[26:27], v[12:13], off offset:192
	global_load_dwordx2 v[12:13], v[12:13], off offset:1248
	;; [unrolled: 1-line block ×5, first 2 shown]
	v_add_co_u32 v6, s0, s2, v6
	v_add_co_ci_u32_e64 v7, s0, s3, v7, s0
	s_mul_i32 s2, s8, 0x420
	v_add_co_u32 v6, s0, v6, v10
	v_add_co_ci_u32_e64 v7, s0, v7, v11, s0
	v_add_co_u32 v10, s0, v6, s2
	v_add_co_ci_u32_e64 v11, s0, s7, v7, s0
	global_load_dwordx2 v[6:7], v[6:7], off
	v_add_co_u32 v30, s0, v10, s2
	v_add_co_ci_u32_e64 v31, s0, s7, v11, s0
	v_add_co_u32 v34, s0, v30, s2
	v_add_co_ci_u32_e64 v35, s0, s7, v31, s0
	s_clause 0x1
	global_load_dwordx2 v[10:11], v[10:11], off
	global_load_dwordx2 v[30:31], v[30:31], off
	v_add_co_u32 v36, s0, v34, s2
	v_add_co_ci_u32_e64 v37, s0, s7, v35, s0
	v_add_co_u32 v38, s0, v36, s2
	v_add_co_ci_u32_e64 v39, s0, s7, v37, s0
	s_clause 0x1
	global_load_dwordx2 v[34:35], v[34:35], off
	global_load_dwordx2 v[36:37], v[36:37], off
	v_add_co_u32 v40, s0, v38, s2
	v_add_co_ci_u32_e64 v41, s0, s7, v39, s0
	global_load_dwordx2 v[38:39], v[38:39], off
	v_add_co_u32 v42, s0, v40, s2
	v_add_co_ci_u32_e64 v43, s0, s7, v41, s0
	;; [unrolled: 3-line block ×7, first 2 shown]
	global_load_dwordx2 v[16:17], v[17:18], off offset:1376
	global_load_dwordx2 v[18:19], v[50:51], off
	global_load_dwordx2 v[20:21], v[20:21], off offset:384
	global_load_dwordx2 v[50:51], v[52:53], off
	s_waitcnt vmcnt(14)
	v_mul_f32_e32 v52, v7, v1
	v_mul_f32_e32 v53, v6, v1
	v_fmac_f32_e32 v52, v6, v0
	v_fma_f32 v53, v7, v0, -v53
	s_waitcnt vmcnt(13)
	v_mul_f32_e32 v1, v11, v3
	v_mul_f32_e32 v0, v10, v3
	s_waitcnt vmcnt(12)
	v_mul_f32_e32 v6, v31, v23
	v_mul_f32_e32 v7, v30, v23
	v_fmac_f32_e32 v1, v10, v2
	v_fma_f32 v2, v11, v2, -v0
	v_fmac_f32_e32 v6, v30, v22
	v_fma_f32 v7, v31, v22, -v7
	s_waitcnt vmcnt(11)
	v_mul_f32_e32 v3, v35, v5
	v_mul_f32_e32 v5, v34, v5
	ds_write2_b64 v83, v[52:53], v[1:2] offset1:132
	s_waitcnt vmcnt(10)
	v_mul_f32_e32 v0, v37, v25
	v_fmac_f32_e32 v3, v34, v4
	v_fma_f32 v4, v35, v4, -v5
	v_mul_f32_e32 v5, v36, v25
	s_waitcnt vmcnt(9)
	v_mul_f32_e32 v2, v39, v9
	v_fmac_f32_e32 v0, v36, v24
	ds_write2_b64 v54, v[6:7], v[3:4] offset0:8 offset1:140
	v_mul_f32_e32 v3, v38, v9
	v_fma_f32 v1, v37, v24, -v5
	s_waitcnt vmcnt(8)
	v_mul_f32_e32 v4, v41, v27
	v_mul_f32_e32 v5, v40, v27
	s_waitcnt vmcnt(7)
	v_mul_f32_e32 v6, v43, v13
	v_mul_f32_e32 v7, v42, v13
	v_fmac_f32_e32 v2, v38, v8
	v_fma_f32 v3, v39, v8, -v3
	v_fmac_f32_e32 v4, v40, v26
	s_waitcnt vmcnt(6)
	v_mul_f32_e32 v8, v45, v29
	v_mul_f32_e32 v9, v44, v29
	v_fmac_f32_e32 v6, v42, v12
	v_fma_f32 v7, v43, v12, -v7
	v_fma_f32 v5, v41, v26, -v5
	s_waitcnt vmcnt(5)
	v_mul_f32_e32 v10, v47, v15
	v_mul_f32_e32 v11, v46, v15
	v_fmac_f32_e32 v8, v44, v28
	v_fma_f32 v9, v45, v28, -v9
	s_waitcnt vmcnt(4)
	v_mul_f32_e32 v12, v49, v33
	v_fmac_f32_e32 v10, v46, v14
	v_fma_f32 v11, v47, v14, -v11
	v_mul_f32_e32 v13, v48, v33
	s_waitcnt vmcnt(2)
	v_mul_f32_e32 v14, v19, v17
	v_mul_f32_e32 v15, v18, v17
	s_waitcnt vmcnt(0)
	v_mul_f32_e32 v17, v51, v21
	v_mul_f32_e32 v21, v50, v21
	v_fmac_f32_e32 v12, v48, v32
	v_fma_f32 v13, v49, v32, -v13
	v_fmac_f32_e32 v14, v18, v16
	v_fma_f32 v15, v19, v16, -v15
	;; [unrolled: 2-line block ×3, first 2 shown]
	ds_write2_b64 v55, v[0:1], v[2:3] offset0:16 offset1:148
	ds_write2_b64 v56, v[4:5], v[6:7] offset0:24 offset1:156
	;; [unrolled: 1-line block ×4, first 2 shown]
	ds_write_b64 v83, v[17:18] offset:12672
.LBB0_3:
	s_or_b32 exec_lo, exec_lo, s1
	v_mov_b32_e32 v0, 0
	v_mov_b32_e32 v1, 0
                                        ; kill: def $vgpr2 killed $sgpr0 killed $exec
	s_waitcnt lgkmcnt(0)
	s_barrier
	buffer_gl0_inv
                                        ; implicit-def: $vgpr14
                                        ; implicit-def: $vgpr10
                                        ; implicit-def: $vgpr6
                                        ; implicit-def: $vgpr28
                                        ; implicit-def: $vgpr18
                                        ; implicit-def: $vgpr22
	s_and_saveexec_b32 s0, vcc_lo
	s_cbranch_execz .LBB0_5
; %bb.4:
	v_add_nc_u32_e32 v4, 0x800, v83
	v_add_nc_u32_e32 v5, 0x1000, v83
	;; [unrolled: 1-line block ×5, first 2 shown]
	ds_read2_b64 v[0:3], v83 offset1:132
	ds_read2_b64 v[20:23], v4 offset0:8 offset1:140
	ds_read2_b64 v[16:19], v5 offset0:16 offset1:148
	;; [unrolled: 1-line block ×5, first 2 shown]
	ds_read_b64 v[28:29], v83 offset:12672
.LBB0_5:
	s_or_b32 exec_lo, exec_lo, s0
	s_waitcnt lgkmcnt(0)
	v_sub_f32_e32 v66, v3, v29
	v_sub_f32_e32 v68, v2, v28
	v_add_f32_e32 v30, v28, v2
	v_add_f32_e32 v32, v29, v3
	v_sub_f32_e32 v71, v20, v6
	v_mul_f32_e32 v40, 0xbeedf032, v66
	v_sub_f32_e32 v67, v21, v7
	v_mul_f32_e32 v47, 0xbeedf032, v68
	v_add_f32_e32 v31, v6, v20
	v_add_f32_e32 v33, v7, v21
	v_fmamk_f32 v24, v30, 0x3f62ad3f, v40
	v_mul_f32_e32 v41, 0xbf52af12, v67
	v_fma_f32 v25, 0x3f62ad3f, v32, -v47
	v_mul_f32_e32 v48, 0xbf52af12, v71
	v_sub_f32_e32 v73, v22, v4
	v_mul_f32_e32 v51, 0xbf52af12, v66
	v_mul_f32_e32 v55, 0xbf52af12, v68
	v_add_f32_e32 v24, v24, v0
	v_fmamk_f32 v34, v31, 0x3f116cb1, v41
	v_add_f32_e32 v25, v25, v1
	v_fma_f32 v36, 0x3f116cb1, v33, -v48
	v_sub_f32_e32 v72, v23, v5
	v_add_f32_e32 v35, v5, v23
	v_mul_f32_e32 v46, 0xbf7e222b, v73
	v_fmamk_f32 v26, v30, 0x3f116cb1, v51
	v_fma_f32 v27, 0x3f116cb1, v32, -v55
	v_add_f32_e32 v24, v34, v24
	v_mul_f32_e32 v54, 0xbf6f5d39, v67
	v_mul_f32_e32 v58, 0xbf6f5d39, v71
	v_add_f32_e32 v34, v4, v22
	v_mul_f32_e32 v44, 0xbf7e222b, v72
	v_add_f32_e32 v25, v36, v25
	v_fma_f32 v36, 0x3df6dbef, v35, -v46
	v_sub_f32_e32 v74, v17, v11
	v_add_f32_e32 v26, v26, v0
	v_add_f32_e32 v27, v27, v1
	v_fmamk_f32 v37, v31, 0xbeb58ec6, v54
	v_fma_f32 v38, 0xbeb58ec6, v33, -v58
	v_fmamk_f32 v39, v34, 0x3df6dbef, v44
	v_mul_f32_e32 v56, 0xbe750f2a, v72
	v_add_f32_e32 v25, v36, v25
	v_sub_f32_e32 v75, v16, v10
	v_add_f32_e32 v36, v10, v16
	v_mul_f32_e32 v45, 0xbf6f5d39, v74
	v_add_f32_e32 v26, v37, v26
	v_add_f32_e32 v27, v38, v27
	;; [unrolled: 1-line block ×3, first 2 shown]
	v_fmamk_f32 v38, v34, 0xbf788fa5, v56
	v_add_f32_e32 v37, v11, v17
	v_mul_f32_e32 v50, 0xbf6f5d39, v75
	v_sub_f32_e32 v76, v19, v9
	v_fmamk_f32 v39, v36, 0xbeb58ec6, v45
	v_sub_f32_e32 v79, v18, v8
	v_add_f32_e32 v26, v38, v26
	v_fma_f32 v42, 0xbeb58ec6, v37, -v50
	v_add_f32_e32 v38, v8, v18
	v_mul_f32_e32 v49, 0xbf29c268, v76
	v_add_f32_e32 v24, v39, v24
	v_add_f32_e32 v39, v9, v19
	v_mul_f32_e32 v53, 0xbf29c268, v79
	v_mul_f32_e32 v59, 0xbe750f2a, v73
	v_add_f32_e32 v25, v42, v25
	v_fmamk_f32 v62, v38, 0xbf3f9e67, v49
	v_sub_f32_e32 v78, v13, v15
	v_fma_f32 v63, 0xbf3f9e67, v39, -v53
	v_mul_f32_e32 v65, 0x3f29c268, v74
	v_fma_f32 v61, 0xbf788fa5, v35, -v59
	v_add_f32_e32 v42, v14, v12
	v_mul_f32_e32 v52, 0xbe750f2a, v78
	v_add_f32_e32 v24, v62, v24
	v_add_f32_e32 v25, v63, v25
	v_fmamk_f32 v62, v36, 0xbf3f9e67, v65
	v_mul_f32_e32 v63, 0x3f7e222b, v76
	v_add_f32_e32 v27, v61, v27
	v_fmamk_f32 v61, v42, 0xbf788fa5, v52
	v_mul_f32_e32 v81, 0xbf7e222b, v66
	;; [unrolled: 3-line block ×3, first 2 shown]
	v_add_f32_e32 v61, v61, v24
	v_mul_f32_e32 v82, 0xbe750f2a, v67
	v_mul_f32_e32 v95, 0xbe750f2a, v71
	v_add_f32_e32 v24, v62, v26
	v_fmamk_f32 v26, v30, 0x3df6dbef, v81
	v_fma_f32 v62, 0x3df6dbef, v32, -v94
	v_mul_f32_e32 v70, 0x3f29c268, v75
	v_fmamk_f32 v77, v31, 0xbf788fa5, v82
	v_mul_f32_e32 v86, 0x3f6f5d39, v72
	v_add_f32_e32 v26, v26, v0
	v_add_f32_e32 v62, v62, v1
	v_fma_f32 v88, 0xbf788fa5, v33, -v95
	v_mul_f32_e32 v90, 0x3f6f5d39, v73
	v_fma_f32 v64, 0xbf3f9e67, v37, -v70
	v_mul_f32_e32 v69, 0x3f7e222b, v79
	v_add_f32_e32 v26, v77, v26
	v_fmamk_f32 v77, v34, 0xbeb58ec6, v86
	v_mul_f32_e32 v87, 0x3eedf032, v74
	v_add_f32_e32 v62, v88, v62
	v_fma_f32 v88, 0xbeb58ec6, v35, -v90
	v_mul_f32_e32 v91, 0x3eedf032, v75
	v_sub_f32_e32 v80, v12, v14
	v_add_f32_e32 v27, v64, v27
	v_fma_f32 v64, 0x3df6dbef, v39, -v69
	v_add_f32_e32 v26, v77, v26
	v_fmamk_f32 v89, v36, 0x3f62ad3f, v87
	v_add_f32_e32 v62, v88, v62
	v_fma_f32 v93, 0x3f62ad3f, v37, -v91
	v_mul_f32_e32 v88, 0xbf52af12, v76
	v_mul_f32_e32 v92, 0xbf52af12, v79
	s_clause 0x1
	s_load_dwordx2 s[6:7], s[4:5], 0x20
	s_load_dwordx2 s[2:3], s[4:5], 0x8
	v_add_f32_e32 v43, v15, v13
	v_mul_f32_e32 v57, 0xbe750f2a, v80
	v_add_f32_e32 v27, v64, v27
	v_mul_f32_e32 v64, 0x3eedf032, v78
	v_mul_f32_e32 v77, 0x3eedf032, v80
	v_add_f32_e32 v26, v89, v26
	v_add_f32_e32 v62, v93, v62
	v_fmamk_f32 v97, v38, 0x3f116cb1, v88
	v_fma_f32 v98, 0x3f116cb1, v39, -v92
	v_mul_f32_e32 v89, 0xbf29c268, v78
	v_mul_f32_e32 v93, 0xbf29c268, v80
	v_fma_f32 v85, 0xbf788fa5, v43, -v57
	v_fmamk_f32 v96, v42, 0x3f62ad3f, v64
	v_fma_f32 v99, 0x3f62ad3f, v43, -v77
	v_add_f32_e32 v97, v97, v26
	v_add_f32_e32 v98, v98, v62
	v_fmamk_f32 v100, v42, 0xbf3f9e67, v89
	v_fma_f32 v101, 0xbf3f9e67, v43, -v93
	v_add_f32_e32 v62, v85, v25
	v_add_f32_e32 v26, v96, v24
	;; [unrolled: 1-line block ×5, first 2 shown]
	v_mul_lo_u16 v85, v84, 13
	s_waitcnt lgkmcnt(0)
	s_barrier
	buffer_gl0_inv
	s_and_saveexec_b32 s0, vcc_lo
	s_cbranch_execz .LBB0_7
; %bb.6:
	v_mul_f32_e32 v98, 0xbf3f9e67, v32
	v_mul_f32_e32 v99, 0x3df6dbef, v33
	;; [unrolled: 1-line block ×5, first 2 shown]
	v_fmamk_f32 v96, v68, 0x3f29c268, v98
	v_fmamk_f32 v105, v71, 0xbf7e222b, v99
	;; [unrolled: 1-line block ×3, first 2 shown]
	v_mul_f32_e32 v102, 0xbf788fa5, v37
	v_mul_f32_e32 v104, 0xbf52af12, v72
	v_add_f32_e32 v96, v96, v1
	v_fmamk_f32 v107, v31, 0x3df6dbef, v103
	v_fmamk_f32 v108, v73, 0x3f52af12, v101
	v_add_f32_e32 v97, v97, v0
	v_mul_f32_e32 v106, 0x3e750f2a, v74
	v_add_f32_e32 v96, v105, v96
	v_mul_f32_e32 v105, 0x3f62ad3f, v39
	v_fmamk_f32 v109, v34, 0x3f116cb1, v104
	v_fmamk_f32 v110, v75, 0xbe750f2a, v102
	v_add_f32_e32 v97, v107, v97
	v_add_f32_e32 v96, v108, v96
	v_mul_f32_e32 v107, 0x3eedf032, v76
	v_fmamk_f32 v108, v36, 0xbf788fa5, v106
	v_fmamk_f32 v111, v79, 0xbeedf032, v105
	v_add_f32_e32 v97, v109, v97
	v_add_f32_e32 v96, v110, v96
	v_mul_f32_e32 v109, 0xbeb58ec6, v43
	v_mul_f32_e32 v110, 0xbe750f2a, v68
	v_fmamk_f32 v112, v38, 0x3f62ad3f, v107
	v_add_f32_e32 v97, v108, v97
	v_add_f32_e32 v96, v111, v96
	v_fmamk_f32 v108, v80, 0x3f6f5d39, v109
	v_fmamk_f32 v111, v32, 0xbf788fa5, v110
	v_mul_f32_e32 v113, 0x3eedf032, v71
	v_mul_f32_e32 v115, 0xbe750f2a, v66
	v_add_f32_e32 v112, v112, v97
	v_mul_f32_e32 v117, 0xbf29c268, v73
	v_add_f32_e32 v111, v111, v1
	v_fmamk_f32 v116, v33, 0x3f62ad3f, v113
	v_add_f32_e32 v97, v108, v96
	v_fma_f32 v96, 0xbf788fa5, v30, -v115
	v_mul_f32_e32 v108, 0x3eedf032, v67
	v_mul_f32_e32 v114, 0xbf6f5d39, v78
	v_add_f32_e32 v111, v116, v111
	v_fmamk_f32 v116, v35, 0xbf3f9e67, v117
	v_mul_f32_e32 v118, 0x3f52af12, v75
	v_add_f32_e32 v96, v96, v0
	v_fma_f32 v119, 0x3f62ad3f, v31, -v108
	v_mul_f32_e32 v120, 0xbf29c268, v72
	v_fmac_f32_e32 v98, 0xbf29c268, v68
	v_fma_f32 v100, 0xbf3f9e67, v30, -v100
	v_add_f32_e32 v111, v116, v111
	v_fmamk_f32 v116, v37, 0x3f116cb1, v118
	v_mul_f32_e32 v121, 0xbf6f5d39, v79
	v_add_f32_e32 v96, v119, v96
	v_fma_f32 v119, 0xbf3f9e67, v34, -v120
	v_mul_f32_e32 v122, 0x3f52af12, v74
	v_fmamk_f32 v123, v42, 0xbeb58ec6, v114
	v_add_f32_e32 v98, v98, v1
	v_fmac_f32_e32 v99, 0x3f7e222b, v71
	v_add_f32_e32 v100, v100, v0
	v_fma_f32 v103, 0x3df6dbef, v31, -v103
	v_add_f32_e32 v111, v116, v111
	v_fmamk_f32 v116, v39, 0xbeb58ec6, v121
	v_add_f32_e32 v119, v119, v96
	v_fma_f32 v124, 0x3f116cb1, v36, -v122
	v_add_f32_e32 v96, v123, v112
	v_mul_f32_e32 v112, 0xbf6f5d39, v76
	v_add_f32_e32 v98, v99, v98
	v_fmac_f32_e32 v101, 0xbf52af12, v73
	v_add_f32_e32 v100, v103, v100
	v_fma_f32 v103, 0x3f116cb1, v34, -v104
	v_add_f32_e32 v111, v116, v111
	v_add_f32_e32 v116, v124, v119
	v_fma_f32 v119, 0xbeb58ec6, v38, -v112
	v_mul_f32_e32 v104, 0x3f7e222b, v78
	v_add_f32_e32 v98, v101, v98
	v_fmac_f32_e32 v102, 0x3e750f2a, v75
	v_add_f32_e32 v100, v103, v100
	v_fma_f32 v101, 0xbf788fa5, v36, -v106
	v_add_f32_e32 v116, v119, v116
	v_fma_f32 v103, 0x3df6dbef, v42, -v104
	v_add_f32_e32 v102, v102, v98
	v_fmac_f32_e32 v105, 0x3eedf032, v79
	v_mul_f32_e32 v68, 0xbf6f5d39, v68
	v_add_f32_e32 v100, v101, v100
	v_fma_f32 v101, 0x3f62ad3f, v38, -v107
	v_mul_f32_e32 v123, 0x3f7e222b, v80
	v_add_f32_e32 v98, v103, v116
	v_add_f32_e32 v102, v105, v102
	v_fmamk_f32 v103, v32, 0xbeb58ec6, v68
	v_mul_f32_e32 v105, 0x3f29c268, v71
	v_add_f32_e32 v71, v101, v100
	v_mul_f32_e32 v100, 0xbf6f5d39, v66
	v_fmamk_f32 v99, v43, 0x3df6dbef, v123
	v_add_f32_e32 v66, v103, v1
	v_fmamk_f32 v101, v33, 0xbf3f9e67, v105
	v_mul_f32_e32 v73, 0x3eedf032, v73
	v_fma_f32 v103, 0xbeb58ec6, v30, -v100
	v_mul_f32_e32 v106, 0x3f29c268, v67
	v_add_f32_e32 v99, v99, v111
	v_fmac_f32_e32 v109, 0xbf6f5d39, v80
	v_fma_f32 v107, 0xbeb58ec6, v42, -v114
	v_add_f32_e32 v66, v101, v66
	v_fmamk_f32 v101, v35, 0x3f62ad3f, v73
	v_add_f32_e32 v103, v103, v0
	v_fma_f32 v111, 0xbf3f9e67, v31, -v106
	v_mul_f32_e32 v114, 0x3eedf032, v72
	v_add_f32_e32 v67, v109, v102
	v_add_f32_e32 v72, v101, v66
	v_mul_f32_e32 v74, 0xbf7e222b, v74
	v_add_f32_e32 v101, v111, v103
	v_fma_f32 v102, 0x3f62ad3f, v34, -v114
	v_mul_f32_e32 v75, 0xbf7e222b, v75
	v_add_f32_e32 v66, v107, v71
	v_mul_f32_e32 v79, 0x3e750f2a, v79
	v_mul_f32_e32 v76, 0x3e750f2a, v76
	v_add_f32_e32 v71, v102, v101
	v_fma_f32 v101, 0x3df6dbef, v36, -v74
	v_mul_f32_e32 v102, 0x3df6dbef, v32
	v_fmamk_f32 v103, v37, 0x3df6dbef, v75
	v_mul_f32_e32 v80, 0x3f52af12, v80
	v_add_f32_e32 v3, v3, v1
	v_add_f32_e32 v71, v101, v71
	v_mul_f32_e32 v101, 0xbf788fa5, v33
	v_add_f32_e32 v94, v94, v102
	v_add_f32_e32 v72, v103, v72
	v_fmamk_f32 v103, v39, 0xbf788fa5, v79
	v_fma_f32 v102, 0xbf788fa5, v38, -v76
	v_add_f32_e32 v95, v95, v101
	v_add_f32_e32 v94, v94, v1
	v_mul_f32_e32 v101, 0xbeb58ec6, v35
	v_add_f32_e32 v72, v103, v72
	v_add_f32_e32 v71, v102, v71
	v_fmamk_f32 v102, v43, 0x3f116cb1, v80
	v_add_f32_e32 v94, v95, v94
	v_mul_f32_e32 v95, 0x3df6dbef, v30
	v_add_f32_e32 v90, v90, v101
	v_mul_f32_e32 v101, 0x3f62ad3f, v37
	;; [unrolled: 2-line block ×3, first 2 shown]
	v_sub_f32_e32 v81, v95, v81
	v_mul_f32_e32 v95, 0xbeb58ec6, v34
	v_add_f32_e32 v90, v90, v94
	v_add_f32_e32 v91, v91, v101
	v_sub_f32_e32 v82, v102, v82
	v_add_f32_e32 v81, v81, v0
	v_mul_f32_e32 v94, 0x3f116cb1, v39
	v_add_f32_e32 v21, v21, v3
	v_add_f32_e32 v90, v91, v90
	;; [unrolled: 1-line block ×4, first 2 shown]
	v_sub_f32_e32 v82, v95, v86
	v_mul_f32_e32 v86, 0x3f62ad3f, v36
	v_add_f32_e32 v91, v92, v94
	v_mul_f32_e32 v92, 0xbeb58ec6, v33
	v_add_f32_e32 v21, v23, v21
	v_add_f32_e32 v81, v82, v81
	v_sub_f32_e32 v82, v86, v87
	v_mul_f32_e32 v86, 0x3f116cb1, v32
	v_mul_f32_e32 v87, 0x3f116cb1, v38
	v_add_f32_e32 v58, v58, v92
	v_add_f32_e32 v2, v20, v2
	;; [unrolled: 1-line block ×4, first 2 shown]
	v_sub_f32_e32 v82, v87, v88
	v_mul_f32_e32 v86, 0xbf3f9e67, v42
	v_add_f32_e32 v17, v17, v21
	v_add_f32_e32 v21, v22, v2
	;; [unrolled: 1-line block ×4, first 2 shown]
	v_mul_f32_e32 v82, 0xbf788fa5, v35
	v_sub_f32_e32 v86, v86, v89
	v_mul_f32_e32 v89, 0x3f116cb1, v30
	v_add_f32_e32 v55, v58, v55
	v_add_f32_e32 v17, v19, v17
	;; [unrolled: 1-line block ×4, first 2 shown]
	v_sub_f32_e32 v51, v89, v51
	v_mul_f32_e32 v88, 0x3f62ad3f, v32
	v_add_f32_e32 v13, v13, v17
	v_add_f32_e32 v55, v82, v55
	v_mul_f32_e32 v82, 0xbeb58ec6, v31
	v_add_f32_e32 v51, v51, v0
	v_add_f32_e32 v16, v18, v16
	;; [unrolled: 1-line block ×3, first 2 shown]
	v_mul_f32_e32 v86, 0x3f116cb1, v33
	v_sub_f32_e32 v54, v82, v54
	v_mul_f32_e32 v82, 0xbf788fa5, v34
	v_add_f32_e32 v47, v47, v88
	v_add_f32_e32 v13, v15, v13
	;; [unrolled: 1-line block ×4, first 2 shown]
	v_sub_f32_e32 v56, v82, v56
	v_mul_f32_e32 v82, 0xbf3f9e67, v36
	v_add_f32_e32 v47, v47, v1
	v_add_f32_e32 v48, v48, v86
	;; [unrolled: 1-line block ×4, first 2 shown]
	v_mul_f32_e32 v56, 0x3df6dbef, v38
	v_sub_f32_e32 v65, v82, v65
	v_add_f32_e32 v13, v14, v15
	v_fma_f32 v14, 0xbf788fa5, v32, -v110
	v_add_f32_e32 v90, v91, v90
	v_mul_f32_e32 v91, 0xbf3f9e67, v43
	v_add_f32_e32 v51, v65, v51
	v_sub_f32_e32 v56, v56, v63
	v_add_f32_e32 v47, v48, v47
	v_mul_f32_e32 v48, 0x3f62ad3f, v42
	v_add_f32_e32 v9, v11, v9
	v_add_f32_e32 v8, v8, v13
	;; [unrolled: 1-line block ×3, first 2 shown]
	v_fma_f32 v13, 0x3f62ad3f, v33, -v113
	v_add_f32_e32 v91, v93, v91
	v_mul_f32_e32 v87, 0x3f62ad3f, v30
	v_mul_f32_e32 v92, 0xbf3f9e67, v37
	v_add_f32_e32 v20, v56, v51
	v_sub_f32_e32 v23, v48, v64
	v_add_f32_e32 v5, v5, v9
	v_add_f32_e32 v8, v10, v8
	;; [unrolled: 1-line block ×3, first 2 shown]
	v_fma_f32 v10, 0xbf3f9e67, v35, -v117
	v_add_f32_e32 v59, v91, v90
	v_mul_f32_e32 v81, 0x3f116cb1, v31
	v_add_f32_e32 v70, v70, v92
	v_mul_f32_e32 v90, 0x3df6dbef, v39
	v_add_f32_e32 v2, v23, v20
	v_sub_f32_e32 v20, v87, v40
	v_add_f32_e32 v5, v7, v5
	v_add_f32_e32 v4, v4, v8
	;; [unrolled: 1-line block ×3, first 2 shown]
	v_fma_f32 v8, 0x3f116cb1, v37, -v118
	v_fmac_f32_e32 v115, 0xbf788fa5, v30
	v_mul_f32_e32 v89, 0x3df6dbef, v34
	v_add_f32_e32 v55, v70, v55
	v_add_f32_e32 v69, v69, v90
	v_add_f32_e32 v20, v20, v0
	v_sub_f32_e32 v17, v81, v41
	v_add_f32_e32 v4, v6, v4
	v_add_f32_e32 v6, v8, v7
	v_fma_f32 v7, 0xbeb58ec6, v39, -v121
	v_add_f32_e32 v8, v115, v0
	v_fmac_f32_e32 v108, 0x3f62ad3f, v31
	v_fma_f32 v9, 0xbeb58ec6, v32, -v68
	v_fmac_f32_e32 v100, 0xbeb58ec6, v30
	v_mul_f32_e32 v70, 0x3df6dbef, v35
	v_mul_f32_e32 v90, 0xbeb58ec6, v36
	v_add_f32_e32 v55, v69, v55
	v_mul_f32_e32 v69, 0x3f62ad3f, v43
	v_add_f32_e32 v16, v17, v20
	v_sub_f32_e32 v17, v89, v44
	v_add_f32_e32 v6, v7, v6
	v_add_f32_e32 v7, v108, v8
	;; [unrolled: 1-line block ×3, first 2 shown]
	v_fma_f32 v8, 0xbf3f9e67, v33, -v105
	v_add_f32_e32 v0, v100, v0
	v_fmac_f32_e32 v106, 0xbf3f9e67, v31
	v_mul_f32_e32 v54, 0xbeb58ec6, v37
	v_add_f32_e32 v46, v46, v70
	v_fmac_f32_e32 v120, 0xbf3f9e67, v34
	v_add_f32_e32 v69, v77, v69
	v_mul_f32_e32 v77, 0xbf3f9e67, v38
	v_add_f32_e32 v15, v17, v16
	v_sub_f32_e32 v16, v90, v45
	v_add_f32_e32 v1, v8, v1
	v_fma_f32 v8, 0x3f62ad3f, v35, -v73
	v_add_f32_e32 v0, v106, v0
	v_fmac_f32_e32 v114, 0x3f62ad3f, v34
	v_mul_f32_e32 v88, 0xbf3f9e67, v39
	v_add_f32_e32 v46, v46, v47
	v_add_f32_e32 v22, v50, v54
	v_add_f32_e32 v7, v120, v7
	v_fmac_f32_e32 v122, 0x3f116cb1, v36
	v_mul_f32_e32 v82, 0xbf788fa5, v42
	v_add_f32_e32 v14, v16, v15
	v_sub_f32_e32 v15, v77, v49
	v_add_f32_e32 v1, v8, v1
	v_fma_f32 v8, 0x3df6dbef, v37, -v75
	v_add_f32_e32 v0, v114, v0
	v_fmac_f32_e32 v74, 0x3df6dbef, v36
	v_mul_f32_e32 v65, 0xbf788fa5, v43
	v_add_f32_e32 v19, v22, v46
	v_add_f32_e32 v21, v53, v88
	v_mul_f32_e32 v78, 0x3f52af12, v78
	v_add_f32_e32 v7, v122, v7
	v_fmac_f32_e32 v112, 0xbeb58ec6, v38
	v_add_f32_e32 v11, v15, v14
	v_sub_f32_e32 v13, v82, v52
	v_add_f32_e32 v1, v8, v1
	v_fma_f32 v8, 0xbf788fa5, v39, -v79
	v_add_f32_e32 v0, v74, v0
	v_fmac_f32_e32 v76, 0xbf788fa5, v38
	v_add_f32_e32 v18, v21, v19
	v_add_f32_e32 v19, v57, v65
	v_mov_b32_e32 v10, 3
	v_fma_f32 v101, 0x3f116cb1, v42, -v78
	v_fma_f32 v9, 0x3df6dbef, v43, -v123
	v_add_f32_e32 v7, v112, v7
	v_fmac_f32_e32 v104, 0x3df6dbef, v42
	v_add_f32_e32 v11, v13, v11
	v_add_f32_e32 v8, v8, v1
	v_fma_f32 v13, 0x3f116cb1, v43, -v80
	v_add_f32_e32 v14, v76, v0
	v_fmac_f32_e32 v78, 0x3f116cb1, v42
	v_add_f32_e32 v12, v19, v18
	v_add_f32_e32 v5, v29, v5
	;; [unrolled: 1-line block ×3, first 2 shown]
	v_lshlrev_b32_sdwa v10, v10, v85 dst_sel:DWORD dst_unused:UNUSED_PAD src0_sel:DWORD src1_sel:WORD_0
	v_add_f32_e32 v3, v69, v55
	v_add_f32_e32 v71, v101, v71
	;; [unrolled: 1-line block ×6, first 2 shown]
	ds_write2_b64 v10, v[4:5], v[11:12] offset1:1
	ds_write2_b64 v10, v[2:3], v[58:59] offset0:2 offset1:3
	ds_write2_b64 v10, v[71:72], v[66:67] offset0:4 offset1:5
	;; [unrolled: 1-line block ×5, first 2 shown]
	ds_write_b64 v10, v[61:62] offset:96
.LBB0_7:
	s_or_b32 exec_lo, exec_lo, s0
	v_add_nc_u32_e32 v0, 0x1300, v83
	v_add_nc_u32_e32 v1, 0x1e00, v83
	;; [unrolled: 1-line block ×4, first 2 shown]
	s_waitcnt lgkmcnt(0)
	s_barrier
	buffer_gl0_inv
	ds_read2_b64 v[4:7], v83 offset1:156
	ds_read2_b64 v[8:11], v0 offset0:16 offset1:250
	ds_read2_b64 v[12:15], v1 offset0:54 offset1:210
	;; [unrolled: 1-line block ×4, first 2 shown]
	v_cmp_gt_u16_e64 s0, 0x4e, v84
	s_and_saveexec_b32 s1, s0
	s_cbranch_execz .LBB0_9
; %bb.8:
	ds_read_b64 v[24:25], v83 offset:6240
	ds_read_b64 v[26:27], v83 offset:13104
.LBB0_9:
	s_or_b32 exec_lo, exec_lo, s1
	v_and_b32_e32 v20, 0xff, v84
	v_mov_b32_e32 v23, 0x4ec5
	v_add_nc_u16 v29, v84, 0x30c
	v_add_co_u32 v28, null, 0x270, v84
	v_mul_lo_u16 v20, 0x4f, v20
	v_add_nc_u16 v40, v84, 0x9c
	v_add_co_u32 v21, null, 0x138, v84
	v_mul_u32_u24_sdwa v34, v29, v23 dst_sel:DWORD dst_unused:UNUSED_PAD src0_sel:WORD_0 src1_sel:DWORD
	v_add_co_u32 v22, null, 0x1d4, v84
	v_lshrrev_b16 v20, 10, v20
	v_mul_u32_u24_sdwa v32, v28, v23 dst_sel:DWORD dst_unused:UNUSED_PAD src0_sel:WORD_0 src1_sel:DWORD
	v_mul_u32_u24_sdwa v31, v40, v23 dst_sel:DWORD dst_unused:UNUSED_PAD src0_sel:WORD_0 src1_sel:DWORD
	;; [unrolled: 1-line block ×3, first 2 shown]
	v_lshrrev_b32_e32 v34, 18, v34
	v_mul_lo_u16 v33, v20, 13
	v_mul_u32_u24_sdwa v23, v22, v23 dst_sel:DWORD dst_unused:UNUSED_PAD src0_sel:WORD_0 src1_sel:DWORD
	v_lshrrev_b32_e32 v32, 18, v32
	v_lshrrev_b32_e32 v31, 18, v31
	;; [unrolled: 1-line block ×3, first 2 shown]
	v_mul_lo_u16 v37, v34, 13
	v_sub_nc_u16 v33, v84, v33
	v_mul_lo_u16 v36, v32, 13
	v_lshrrev_b32_e32 v23, 18, v23
	v_mul_lo_u16 v38, v31, 13
	v_sub_nc_u16 v29, v29, v37
	v_mul_lo_u16 v37, v35, 13
	v_mov_b32_e32 v30, 3
	v_and_b32_e32 v33, 0xff, v33
	v_sub_nc_u16 v28, v28, v36
	v_mul_lo_u16 v39, v23, 13
	v_sub_nc_u16 v38, v40, v38
	v_sub_nc_u16 v21, v21, v37
	v_lshlrev_b32_e32 v36, 3, v33
	v_lshlrev_b32_sdwa v41, v30, v28 dst_sel:DWORD dst_unused:UNUSED_PAD src0_sel:DWORD src1_sel:WORD_0
	v_lshlrev_b32_sdwa v42, v30, v29 dst_sel:DWORD dst_unused:UNUSED_PAD src0_sel:DWORD src1_sel:WORD_0
	v_sub_nc_u16 v22, v22, v39
	v_lshlrev_b32_sdwa v37, v30, v38 dst_sel:DWORD dst_unused:UNUSED_PAD src0_sel:DWORD src1_sel:WORD_0
	v_lshlrev_b32_sdwa v39, v30, v21 dst_sel:DWORD dst_unused:UNUSED_PAD src0_sel:DWORD src1_sel:WORD_0
	s_clause 0x2
	global_load_dwordx2 v[67:68], v41, s[2:3]
	global_load_dwordx2 v[65:66], v42, s[2:3]
	;; [unrolled: 1-line block ×3, first 2 shown]
	v_lshlrev_b32_sdwa v36, v30, v22 dst_sel:DWORD dst_unused:UNUSED_PAD src0_sel:DWORD src1_sel:WORD_0
	s_clause 0x2
	global_load_dwordx2 v[73:74], v37, s[2:3]
	global_load_dwordx2 v[71:72], v39, s[2:3]
	;; [unrolled: 1-line block ×3, first 2 shown]
	v_mov_b32_e32 v36, 26
	v_mad_u16 v21, v35, 26, v21
	v_mad_u16 v22, v23, 26, v22
	v_mad_u16 v23, v32, 26, v28
	v_mad_u16 v31, v31, 26, v38
	v_mul_u32_u24_sdwa v20, v20, v36 dst_sel:DWORD dst_unused:UNUSED_PAD src0_sel:WORD_0 src1_sel:DWORD
	s_load_dwordx4 s[4:7], s[6:7], 0x0
	v_mad_u16 v87, v34, 26, v29
	v_lshlrev_b32_sdwa v90, v30, v21 dst_sel:DWORD dst_unused:UNUSED_PAD src0_sel:DWORD src1_sel:WORD_0
	v_lshlrev_b32_sdwa v89, v30, v22 dst_sel:DWORD dst_unused:UNUSED_PAD src0_sel:DWORD src1_sel:WORD_0
	v_add_lshl_u32 v92, v20, v33, 3
	v_lshlrev_b32_sdwa v88, v30, v23 dst_sel:DWORD dst_unused:UNUSED_PAD src0_sel:DWORD src1_sel:WORD_0
	v_lshlrev_b32_sdwa v91, v30, v31 dst_sel:DWORD dst_unused:UNUSED_PAD src0_sel:DWORD src1_sel:WORD_0
	s_waitcnt vmcnt(0) lgkmcnt(0)
	s_barrier
	buffer_gl0_inv
	v_mul_f32_e32 v20, v19, v68
	v_mul_f32_e32 v21, v18, v68
	;; [unrolled: 1-line block ×12, first 2 shown]
	v_fma_f32 v18, v18, v67, -v20
	v_fmac_f32_e32 v21, v19, v67
	v_fma_f32 v19, v26, v65, -v22
	v_fmac_f32_e32 v23, v27, v65
	;; [unrolled: 2-line block ×6, first 2 shown]
	v_sub_f32_e32 v20, v8, v18
	v_sub_f32_e32 v21, v9, v21
	;; [unrolled: 1-line block ×12, first 2 shown]
	v_fma_f32 v28, v8, 2.0, -v20
	v_fma_f32 v29, v9, 2.0, -v21
	;; [unrolled: 1-line block ×12, first 2 shown]
	ds_write2_b64 v92, v[4:5], v[10:11] offset1:13
	ds_write2_b64 v91, v[6:7], v[14:15] offset1:13
	ds_write2_b64 v90, v[0:1], v[16:17] offset1:13
	ds_write2_b64 v89, v[12:13], v[26:27] offset1:13
	ds_write2_b64 v88, v[28:29], v[20:21] offset1:13
	s_and_saveexec_b32 s1, s0
	s_cbranch_execz .LBB0_11
; %bb.10:
	v_lshlrev_b32_sdwa v0, v30, v87 dst_sel:DWORD dst_unused:UNUSED_PAD src0_sel:DWORD src1_sel:WORD_0
	ds_write2_b64 v0, v[24:25], v[22:23] offset1:13
.LBB0_11:
	s_or_b32 exec_lo, exec_lo, s1
	s_waitcnt lgkmcnt(0)
	s_barrier
	buffer_gl0_inv
	ds_read_b64 v[14:15], v83
	ds_read_b64 v[38:39], v83 offset:2288
	ds_read_b64 v[36:37], v83 offset:4576
	;; [unrolled: 1-line block ×5, first 2 shown]
	v_cmp_gt_u16_e64 s1, 0x82, v84
	s_and_saveexec_b32 s8, s1
	s_cbranch_execz .LBB0_13
; %bb.12:
	ds_read_b64 v[12:13], v83 offset:1248
	ds_read_b64 v[26:27], v83 offset:3536
	;; [unrolled: 1-line block ×6, first 2 shown]
.LBB0_13:
	s_or_b32 exec_lo, exec_lo, s8
	v_and_b32_e32 v0, 0xff, v84
	v_mov_b32_e32 v1, 0x4ec5
	v_mul_lo_u16 v0, 0x4f, v0
	v_lshrrev_b16 v42, 11, v0
	v_mul_u32_u24_sdwa v0, v40, v1 dst_sel:DWORD dst_unused:UNUSED_PAD src0_sel:WORD_0 src1_sel:DWORD
	v_mul_lo_u16 v1, v42, 26
	v_lshrrev_b32_e32 v43, 19, v0
	v_sub_nc_u16 v0, v84, v1
	v_mul_lo_u16 v1, v43, 26
	v_and_b32_e32 v44, 0xff, v0
	v_sub_nc_u16 v45, v40, v1
	v_mad_u64_u32 v[0:1], null, v44, 40, s[2:3]
	v_mul_lo_u16 v2, v45, 40
	v_mad_u16 v86, 0x9c, v43, v45
	s_clause 0x1
	global_load_dwordx4 v[16:19], v[0:1], off offset:104
	global_load_dwordx4 v[8:11], v[0:1], off offset:120
	v_and_b32_e32 v2, 0xffff, v2
	v_add_co_u32 v40, s8, s2, v2
	v_add_co_ci_u32_e64 v41, null, s3, 0, s8
	s_clause 0x3
	global_load_dwordx2 v[77:78], v[0:1], off offset:136
	global_load_dwordx4 v[4:7], v[40:41], off offset:104
	global_load_dwordx4 v[0:3], v[40:41], off offset:120
	global_load_dwordx2 v[63:64], v[40:41], off offset:136
	v_mov_b32_e32 v40, 0x9c
	s_waitcnt vmcnt(0) lgkmcnt(0)
	s_barrier
	buffer_gl0_inv
	v_mul_u32_u24_sdwa v40, v42, v40 dst_sel:DWORD dst_unused:UNUSED_PAD src0_sel:WORD_0 src1_sel:DWORD
	v_add_lshl_u32 v93, v40, v44, 3
	v_mul_f32_e32 v45, v39, v17
	v_mul_f32_e32 v47, v38, v17
	;; [unrolled: 1-line block ×8, first 2 shown]
	v_fma_f32 v38, v38, v16, -v45
	v_fmac_f32_e32 v47, v39, v16
	v_mul_f32_e32 v53, v31, v78
	v_mul_f32_e32 v54, v30, v78
	;; [unrolled: 1-line block ×12, first 2 shown]
	v_fma_f32 v36, v36, v18, -v46
	v_fmac_f32_e32 v48, v37, v18
	v_fma_f32 v34, v34, v8, -v49
	v_fmac_f32_e32 v50, v35, v8
	;; [unrolled: 2-line block ×4, first 2 shown]
	v_fmac_f32_e32 v42, v27, v4
	v_fma_f32 v27, v28, v6, -v56
	v_fma_f32 v28, v20, v0, -v57
	v_fmac_f32_e32 v43, v21, v0
	v_fma_f32 v20, v22, v63, -v59
	v_fmac_f32_e32 v41, v23, v63
	;; [unrolled: 2-line block ×4, first 2 shown]
	v_add_f32_e32 v23, v36, v32
	v_sub_f32_e32 v25, v48, v52
	v_add_f32_e32 v24, v15, v48
	v_add_f32_e32 v29, v48, v52
	;; [unrolled: 1-line block ×9, first 2 shown]
	v_sub_f32_e32 v45, v50, v54
	v_sub_f32_e32 v49, v34, v35
	v_add_f32_e32 v50, v27, v21
	v_sub_f32_e32 v34, v43, v41
	v_sub_f32_e32 v33, v28, v20
	v_fma_f32 v56, -0.5, v23, v14
	v_add_f32_e32 v14, v24, v52
	v_fmac_f32_e32 v15, -0.5, v29
	v_add_f32_e32 v23, v37, v35
	v_fmac_f32_e32 v38, -0.5, v39
	;; [unrolled: 2-line block ×3, first 2 shown]
	v_fma_f32 v35, -0.5, v53, v26
	v_fma_f32 v29, -0.5, v55, v42
	v_sub_f32_e32 v36, v36, v32
	v_add_f32_e32 v51, v44, v40
	v_add_f32_e32 v32, v22, v32
	v_fma_f32 v22, -0.5, v50, v12
	v_fmamk_f32 v48, v45, 0x3f5db3d7, v38
	v_fmamk_f32 v50, v49, 0xbf5db3d7, v47
	v_fmac_f32_e32 v47, 0x3f5db3d7, v49
	v_add_f32_e32 v37, v14, v39
	v_sub_f32_e32 v46, v14, v39
	v_fmamk_f32 v39, v34, 0xbf5db3d7, v35
	v_fmamk_f32 v49, v33, 0x3f5db3d7, v29
	v_fmac_f32_e32 v38, 0xbf5db3d7, v45
	v_sub_f32_e32 v30, v44, v40
	v_sub_f32_e32 v31, v27, v21
	v_fma_f32 v24, -0.5, v51, v13
	v_fmamk_f32 v52, v36, 0xbf5db3d7, v15
	v_fmac_f32_e32 v15, 0x3f5db3d7, v36
	v_add_f32_e32 v36, v32, v23
	v_sub_f32_e32 v45, v32, v23
	v_mul_f32_e32 v53, 0x3f5db3d7, v50
	v_mul_f32_e32 v55, 0xbf5db3d7, v48
	v_mul_f32_e32 v23, -0.5, v39
	v_mul_f32_e32 v32, -0.5, v49
	;; [unrolled: 1-line block ×4, first 2 shown]
	v_fmamk_f32 v51, v25, 0x3f5db3d7, v56
	v_fmac_f32_e32 v56, 0xbf5db3d7, v25
	v_fmamk_f32 v14, v30, 0xbf5db3d7, v22
	v_fmamk_f32 v25, v31, 0x3f5db3d7, v24
	v_fmac_f32_e32 v53, 0.5, v48
	v_fmac_f32_e32 v55, 0.5, v50
	v_fmac_f32_e32 v23, 0x3f5db3d7, v49
	v_fmac_f32_e32 v32, 0xbf5db3d7, v39
	v_fmac_f32_e32 v54, 0x3f5db3d7, v47
	v_fmac_f32_e32 v57, 0xbf5db3d7, v38
	v_add_f32_e32 v47, v51, v53
	v_add_f32_e32 v48, v52, v55
	v_sub_f32_e32 v38, v14, v23
	v_sub_f32_e32 v39, v25, v32
	v_add_f32_e32 v49, v56, v54
	v_add_f32_e32 v50, v15, v57
	v_sub_f32_e32 v51, v51, v53
	v_sub_f32_e32 v53, v56, v54
	v_sub_f32_e32 v52, v52, v55
	v_sub_f32_e32 v54, v15, v57
	ds_write2_b64 v93, v[36:37], v[47:48] offset1:26
	ds_write2_b64 v93, v[49:50], v[45:46] offset0:52 offset1:78
	ds_write2_b64 v93, v[51:52], v[53:54] offset0:104 offset1:130
	s_and_saveexec_b32 s8, s1
	s_cbranch_execz .LBB0_15
; %bb.14:
	v_mul_f32_e32 v15, 0x3f5db3d7, v34
	v_mul_f32_e32 v33, 0x3f5db3d7, v33
	v_add_f32_e32 v12, v12, v27
	v_mul_f32_e32 v30, 0x3f5db3d7, v30
	v_mul_f32_e32 v31, 0x3f5db3d7, v31
	v_add_f32_e32 v34, v15, v35
	v_sub_f32_e32 v27, v29, v33
	v_add_f32_e32 v13, v13, v44
	v_add_f32_e32 v15, v42, v43
	;; [unrolled: 1-line block ×3, first 2 shown]
	v_mul_f32_e32 v28, 0x3f5db3d7, v34
	v_mul_f32_e32 v35, 0x3f5db3d7, v27
	v_sub_f32_e32 v24, v24, v31
	v_add_f32_e32 v29, v13, v40
	v_add_f32_e32 v31, v15, v41
	;; [unrolled: 1-line block ×3, first 2 shown]
	v_fma_f32 v28, v27, 0.5, -v28
	v_add_f32_e32 v20, v26, v20
	v_add_f32_e32 v22, v30, v22
	v_fmac_f32_e32 v35, 0.5, v34
	v_mov_b32_e32 v30, 3
	v_sub_f32_e32 v15, v24, v28
	v_add_f32_e32 v21, v25, v32
	v_add_f32_e32 v25, v24, v28
	;; [unrolled: 1-line block ×5, first 2 shown]
	v_lshlrev_b32_sdwa v28, v30, v86 dst_sel:DWORD dst_unused:UNUSED_PAD src0_sel:DWORD src1_sel:WORD_0
	v_sub_f32_e32 v13, v29, v31
	v_sub_f32_e32 v12, v33, v20
	v_add_f32_e32 v20, v14, v23
	v_sub_f32_e32 v14, v22, v35
	ds_write2_b64 v28, v[26:27], v[24:25] offset1:26
	ds_write2_b64 v28, v[20:21], v[12:13] offset0:52 offset1:78
	ds_write2_b64 v28, v[14:15], v[38:39] offset0:104 offset1:130
.LBB0_15:
	s_or_b32 exec_lo, exec_lo, s8
	v_mad_u64_u32 v[24:25], null, 0x50, v84, s[2:3]
	s_waitcnt lgkmcnt(0)
	s_barrier
	buffer_gl0_inv
	v_add_nc_u32_e32 v44, 0x1800, v83
	v_add_nc_u32_e32 v79, 0x800, v83
	;; [unrolled: 1-line block ×3, first 2 shown]
	s_clause 0x4
	global_load_dwordx4 v[32:35], v[24:25], off offset:1144
	global_load_dwordx4 v[28:31], v[24:25], off offset:1160
	;; [unrolled: 1-line block ×5, first 2 shown]
	ds_read2_b64 v[40:43], v83 offset1:156
	ds_read2_b64 v[56:59], v79 offset0:56 offset1:212
	ds_read2_b64 v[52:55], v44 offset0:12 offset1:168
	v_add_nc_u32_e32 v44, 0x2a00, v83
	ds_read_b64 v[36:37], v83 offset:4992
	ds_read2_b64 v[48:51], v45 offset0:68 offset1:224
	ds_read2_b64 v[44:47], v44 offset0:60 offset1:216
	v_add_nc_u32_e32 v80, 0x1c00, v83
	v_add_nc_u32_e32 v81, 0x2400, v83
	s_waitcnt vmcnt(4) lgkmcnt(5)
	v_mul_f32_e32 v82, v43, v33
	v_mul_f32_e32 v94, v42, v33
	s_waitcnt lgkmcnt(4)
	v_mul_f32_e32 v95, v57, v35
	v_mul_f32_e32 v96, v56, v35
	s_waitcnt vmcnt(3) lgkmcnt(2)
	v_mul_f32_e32 v100, v36, v31
	s_waitcnt vmcnt(2)
	v_mul_f32_e32 v101, v53, v21
	v_mul_f32_e32 v103, v55, v23
	s_waitcnt vmcnt(0) lgkmcnt(0)
	v_mul_f32_e32 v109, v45, v25
	v_mul_f32_e32 v110, v44, v25
	;; [unrolled: 1-line block ×4, first 2 shown]
	v_fma_f32 v42, v42, v32, -v82
	v_fmac_f32_e32 v94, v43, v32
	v_mul_f32_e32 v97, v59, v29
	v_mul_f32_e32 v98, v58, v29
	;; [unrolled: 1-line block ×9, first 2 shown]
	v_fma_f32 v43, v56, v34, -v95
	v_fmac_f32_e32 v96, v57, v34
	v_fmac_f32_e32 v100, v37, v30
	v_fma_f32 v37, v52, v20, -v101
	v_fma_f32 v52, v54, v22, -v103
	;; [unrolled: 1-line block ×4, first 2 shown]
	v_fmac_f32_e32 v112, v47, v26
	v_fmac_f32_e32 v110, v45, v24
	v_add_f32_e32 v44, v40, v42
	v_add_f32_e32 v45, v41, v94
	v_fma_f32 v56, v58, v28, -v97
	v_fmac_f32_e32 v98, v59, v28
	v_fma_f32 v36, v36, v30, -v99
	v_fmac_f32_e32 v102, v53, v20
	v_fmac_f32_e32 v104, v55, v22
	v_fma_f32 v48, v48, v12, -v105
	v_fmac_f32_e32 v106, v49, v12
	v_fma_f32 v49, v50, v14, -v107
	v_fmac_f32_e32 v108, v51, v14
	v_add_f32_e32 v46, v42, v82
	v_sub_f32_e32 v42, v42, v82
	v_sub_f32_e32 v50, v94, v112
	v_add_f32_e32 v51, v43, v54
	v_sub_f32_e32 v55, v43, v54
	v_add_f32_e32 v43, v44, v43
	v_add_f32_e32 v44, v45, v96
	;; [unrolled: 1-line block ×4, first 2 shown]
	v_sub_f32_e32 v57, v96, v110
	v_sub_f32_e32 v94, v56, v49
	;; [unrolled: 1-line block ×7, first 2 shown]
	v_mul_f32_e32 v96, 0xbf0a6770, v42
	v_mul_f32_e32 v113, 0xbf68dda4, v50
	;; [unrolled: 1-line block ×8, first 2 shown]
	v_add_f32_e32 v43, v43, v56
	v_add_f32_e32 v44, v44, v98
	;; [unrolled: 1-line block ×8, first 2 shown]
	v_mul_f32_e32 v45, 0xbf0a6770, v50
	v_mul_f32_e32 v50, 0xbe903f40, v50
	;; [unrolled: 1-line block ×42, first 2 shown]
	v_fmamk_f32 v98, v47, 0x3f575c64, v96
	v_fma_f32 v96, 0x3f575c64, v47, -v96
	v_fma_f32 v151, 0x3ed4b147, v46, -v113
	v_fmamk_f32 v152, v47, 0x3ed4b147, v114
	v_fma_f32 v114, 0x3ed4b147, v47, -v114
	v_fma_f32 v153, 0xbe11bafb, v46, -v115
	;; [unrolled: 3-line block ×3, first 2 shown]
	v_fmamk_f32 v156, v47, 0xbf27a4f4, v118
	v_fma_f32 v118, 0xbf27a4f4, v47, -v118
	v_fmamk_f32 v158, v47, 0xbf75a155, v42
	v_fma_f32 v42, 0xbf75a155, v47, -v42
	v_add_f32_e32 v36, v43, v36
	v_add_f32_e32 v43, v44, v100
	v_fma_f32 v56, 0x3f575c64, v46, -v45
	v_fmac_f32_e32 v45, 0x3f575c64, v46
	v_fmac_f32_e32 v113, 0x3ed4b147, v46
	;; [unrolled: 1-line block ×4, first 2 shown]
	v_fma_f32 v157, 0xbf75a155, v46, -v50
	v_fmac_f32_e32 v50, 0xbf75a155, v46
	v_fma_f32 v46, 0x3ed4b147, v51, -v119
	v_fmamk_f32 v47, v53, 0x3ed4b147, v120
	v_fmac_f32_e32 v119, 0x3ed4b147, v51
	v_fma_f32 v120, 0x3ed4b147, v53, -v120
	v_fma_f32 v159, 0xbf27a4f4, v51, -v121
	v_fmamk_f32 v160, v53, 0xbf27a4f4, v122
	v_fmac_f32_e32 v121, 0xbf27a4f4, v51
	v_fma_f32 v122, 0xbf27a4f4, v53, -v122
	;; [unrolled: 4-line block ×14, first 2 shown]
	v_fma_f32 v181, 0x3ed4b147, v97, -v103
	v_fmac_f32_e32 v103, 0x3ed4b147, v97
	v_fmamk_f32 v97, v99, 0x3ed4b147, v101
	v_fma_f32 v99, 0x3ed4b147, v99, -v101
	v_fma_f32 v101, 0xbf75a155, v107, -v143
	v_fmac_f32_e32 v143, 0xbf75a155, v107
	v_fma_f32 v182, 0x3f575c64, v107, -v144
	v_fmac_f32_e32 v144, 0x3f575c64, v107
	;; [unrolled: 2-line block ×5, first 2 shown]
	v_fmamk_f32 v107, v111, 0xbf75a155, v147
	v_fma_f32 v147, 0xbf75a155, v111, -v147
	v_fmamk_f32 v186, v111, 0x3f575c64, v148
	v_fma_f32 v148, 0x3f575c64, v111, -v148
	;; [unrolled: 2-line block ×5, first 2 shown]
	v_add_f32_e32 v98, v41, v98
	v_add_f32_e32 v96, v41, v96
	;; [unrolled: 1-line block ×112, first 2 shown]
	ds_write2_b64 v79, v[56:57], v[58:59] offset0:56 offset1:212
	ds_write_b64 v83, v[52:53] offset:4992
	ds_write_b64 v83, v[36:37] offset:12480
	ds_write2_b64 v83, v[40:41], v[42:43] offset1:156
	ds_write_b64 v83, v[54:55] offset:6240
	ds_write2_b64 v80, v[48:49], v[50:51] offset0:40 offset1:196
	ds_write2_b64 v81, v[44:45], v[46:47] offset0:96 offset1:252
	s_waitcnt lgkmcnt(0)
	s_barrier
	buffer_gl0_inv
	s_and_saveexec_b32 s3, vcc_lo
	s_cbranch_execz .LBB0_17
; %bb.16:
	v_add_co_u32 v79, s2, s14, v83
	v_add_co_ci_u32_e64 v82, null, s15, 0, s2
	v_add_nc_u32_e32 v143, 0x1400, v83
	v_add_co_u32 v94, s2, 0x3000, v79
	v_add_co_ci_u32_e64 v95, s2, 0, v82, s2
	v_add_co_u32 v96, s2, 0x35a0, v79
	v_add_co_ci_u32_e64 v97, s2, 0, v82, s2
	global_load_dwordx2 v[94:95], v[94:95], off offset:1440
	v_add_co_u32 v98, s2, 0x3800, v79
	v_add_co_ci_u32_e64 v99, s2, 0, v82, s2
	v_add_co_u32 v100, s2, 0x4000, v79
	v_add_co_ci_u32_e64 v101, s2, 0, v82, s2
	v_add_co_u32 v102, s2, 0x4800, v79
	v_add_co_ci_u32_e64 v103, s2, 0, v82, s2
	s_clause 0x2
	global_load_dwordx2 v[118:119], v[98:99], off offset:1504
	global_load_dwordx2 v[120:121], v[100:101], off offset:512
	;; [unrolled: 1-line block ×3, first 2 shown]
	v_add_co_u32 v96, s2, 0x5000, v79
	v_add_co_ci_u32_e64 v97, s2, 0, v82, s2
	v_add_co_u32 v98, s2, 0x5800, v79
	v_add_co_ci_u32_e64 v99, s2, 0, v82, s2
	s_clause 0x4
	global_load_dwordx2 v[124:125], v[100:101], off offset:1568
	global_load_dwordx2 v[126:127], v[102:103], off offset:576
	;; [unrolled: 1-line block ×5, first 2 shown]
	v_add_co_u32 v96, s2, 0x6000, v79
	v_add_co_ci_u32_e64 v97, s2, 0, v82, s2
	s_clause 0x3
	global_load_dwordx2 v[134:135], v[98:99], off offset:704
	global_load_dwordx2 v[136:137], v[98:99], off offset:1760
	;; [unrolled: 1-line block ×4, first 2 shown]
	ds_read_b64 v[96:97], v83
	v_add_nc_u32_e32 v82, 0xc00, v83
	v_add_nc_u32_e32 v144, 0x2c00, v83
	s_waitcnt vmcnt(12) lgkmcnt(0)
	v_mul_f32_e32 v79, v97, v95
	v_mul_f32_e32 v99, v96, v95
	v_fma_f32 v98, v96, v94, -v79
	v_fmac_f32_e32 v99, v97, v94
	v_add_nc_u32_e32 v79, 0x400, v83
	ds_write_b64 v83, v[98:99]
	ds_read2_b64 v[94:97], v79 offset0:4 offset1:136
	ds_read2_b64 v[98:101], v82 offset0:12 offset1:144
	;; [unrolled: 1-line block ×6, first 2 shown]
	s_waitcnt vmcnt(10) lgkmcnt(4)
	v_mul_f32_e32 v147, v99, v121
	s_waitcnt vmcnt(9)
	v_mul_f32_e32 v145, v95, v123
	v_mul_f32_e32 v142, v94, v123
	v_mul_f32_e32 v146, v97, v119
	v_mul_f32_e32 v123, v96, v119
	v_mul_f32_e32 v119, v98, v121
	s_waitcnt vmcnt(8)
	v_mul_f32_e32 v148, v101, v125
	v_mul_f32_e32 v121, v100, v125
	s_waitcnt vmcnt(7) lgkmcnt(3)
	v_mul_f32_e32 v149, v103, v127
	v_mul_f32_e32 v125, v102, v127
	s_waitcnt vmcnt(6)
	v_mul_f32_e32 v150, v105, v129
	v_mul_f32_e32 v127, v104, v129
	s_waitcnt vmcnt(5) lgkmcnt(2)
	v_mul_f32_e32 v151, v107, v131
	v_mul_f32_e32 v129, v106, v131
	;; [unrolled: 6-line block ×4, first 2 shown]
	s_waitcnt vmcnt(0)
	v_mul_f32_e32 v156, v117, v141
	v_mul_f32_e32 v139, v116, v141
	v_fma_f32 v141, v94, v122, -v145
	v_fmac_f32_e32 v142, v95, v122
	v_fma_f32 v122, v96, v118, -v146
	v_fmac_f32_e32 v123, v97, v118
	;; [unrolled: 2-line block ×12, first 2 shown]
	ds_write2_b64 v79, v[141:142], v[122:123] offset0:4 offset1:136
	ds_write2_b64 v82, v[118:119], v[120:121] offset0:12 offset1:144
	;; [unrolled: 1-line block ×6, first 2 shown]
.LBB0_17:
	s_or_b32 exec_lo, exec_lo, s3
	s_waitcnt lgkmcnt(0)
	s_barrier
	buffer_gl0_inv
	s_and_saveexec_b32 s2, vcc_lo
	s_cbranch_execz .LBB0_19
; %bb.18:
	v_add_nc_u32_e32 v36, 0x800, v83
	v_add_nc_u32_e32 v37, 0x1000, v83
	;; [unrolled: 1-line block ×5, first 2 shown]
	ds_read2_b64 v[40:43], v83 offset1:132
	ds_read2_b64 v[56:59], v36 offset0:8 offset1:140
	ds_read2_b64 v[52:55], v37 offset0:16 offset1:148
	;; [unrolled: 1-line block ×5, first 2 shown]
	ds_read_b64 v[61:62], v83 offset:12672
.LBB0_19:
	s_or_b32 exec_lo, exec_lo, s2
	s_waitcnt lgkmcnt(0)
	v_sub_f32_e32 v106, v43, v62
	v_add_f32_e32 v110, v62, v43
	v_add_f32_e32 v94, v61, v42
	v_sub_f32_e32 v107, v57, v39
	v_sub_f32_e32 v96, v42, v61
	v_mul_f32_e32 v113, 0xbf52af12, v106
	v_mul_f32_e32 v119, 0x3f116cb1, v110
	v_add_f32_e32 v95, v38, v56
	v_add_f32_e32 v112, v39, v57
	v_mul_f32_e32 v125, 0xbf7e222b, v106
	v_fma_f32 v79, 0x3f116cb1, v94, -v113
	v_mul_f32_e32 v129, 0x3df6dbef, v110
	v_mul_f32_e32 v118, 0xbf6f5d39, v107
	v_fmamk_f32 v80, v96, 0xbf52af12, v119
	v_fma_f32 v81, 0x3df6dbef, v94, -v125
	v_add_f32_e32 v79, v40, v79
	v_fmamk_f32 v82, v96, 0xbf7e222b, v129
	v_fma_f32 v98, 0xbeb58ec6, v95, -v118
	v_sub_f32_e32 v97, v56, v38
	v_mul_f32_e32 v122, 0xbeb58ec6, v112
	v_sub_f32_e32 v108, v59, v37
	v_mul_f32_e32 v128, 0xbe750f2a, v107
	v_mul_f32_e32 v134, 0xbf788fa5, v112
	v_add_f32_e32 v116, v37, v59
	v_add_f32_e32 v80, v41, v80
	v_add_f32_e32 v81, v40, v81
	v_add_f32_e32 v82, v41, v82
	v_add_f32_e32 v79, v98, v79
	v_fmamk_f32 v100, v97, 0xbf6f5d39, v122
	v_add_f32_e32 v98, v36, v58
	v_mul_f32_e32 v121, 0xbe750f2a, v108
	v_fma_f32 v101, 0xbf788fa5, v95, -v128
	v_fmamk_f32 v102, v97, 0xbe750f2a, v134
	v_sub_f32_e32 v99, v58, v36
	v_mul_f32_e32 v124, 0xbf788fa5, v116
	v_add_f32_e32 v114, v47, v53
	v_fma_f32 v103, 0xbf788fa5, v98, -v121
	v_add_f32_e32 v80, v100, v80
	v_add_f32_e32 v81, v101, v81
	;; [unrolled: 1-line block ×3, first 2 shown]
	v_fmamk_f32 v102, v99, 0xbe750f2a, v124
	v_sub_f32_e32 v109, v53, v47
	v_mul_f32_e32 v130, 0x3f6f5d39, v108
	v_mul_f32_e32 v137, 0xbeb58ec6, v116
	v_sub_f32_e32 v101, v52, v46
	v_mul_f32_e32 v126, 0xbf3f9e67, v114
	v_add_f32_e32 v79, v103, v79
	v_add_f32_e32 v100, v46, v52
	v_mul_f32_e32 v123, 0x3f29c268, v109
	v_fma_f32 v103, 0xbeb58ec6, v98, -v130
	v_fmamk_f32 v104, v99, 0x3f6f5d39, v137
	v_add_f32_e32 v80, v102, v80
	v_fmamk_f32 v102, v101, 0x3f29c268, v126
	v_mul_f32_e32 v133, 0x3eedf032, v109
	v_sub_f32_e32 v111, v55, v45
	v_fma_f32 v105, 0xbf3f9e67, v100, -v123
	v_add_f32_e32 v81, v103, v81
	v_add_f32_e32 v82, v104, v82
	;; [unrolled: 1-line block ×4, first 2 shown]
	v_fma_f32 v104, 0x3f62ad3f, v100, -v133
	v_add_f32_e32 v102, v44, v54
	v_mul_f32_e32 v127, 0x3f7e222b, v111
	v_mul_f32_e32 v135, 0xbf52af12, v111
	v_add_f32_e32 v79, v105, v79
	v_mul_f32_e32 v139, 0x3f62ad3f, v114
	v_sub_f32_e32 v103, v54, v44
	v_mul_f32_e32 v131, 0x3df6dbef, v117
	v_fma_f32 v115, 0x3df6dbef, v102, -v127
	v_add_f32_e32 v81, v104, v81
	v_fma_f32 v120, 0x3f116cb1, v102, -v135
	v_fmamk_f32 v105, v101, 0x3eedf032, v139
	v_fmamk_f32 v104, v103, 0x3f7e222b, v131
	v_add_f32_e32 v79, v115, v79
	v_mul_f32_e32 v140, 0x3f116cb1, v117
	v_add_f32_e32 v142, v120, v81
	v_sub_f32_e32 v115, v49, v51
	v_add_f32_e32 v120, v51, v49
	v_add_f32_e32 v82, v105, v82
	;; [unrolled: 1-line block ×3, first 2 shown]
	v_fmamk_f32 v81, v103, 0xbf52af12, v140
	v_add_f32_e32 v104, v50, v48
	v_sub_f32_e32 v105, v48, v50
	v_mul_f32_e32 v132, 0x3eedf032, v115
	v_mul_f32_e32 v136, 0x3f62ad3f, v120
	;; [unrolled: 1-line block ×4, first 2 shown]
	v_add_f32_e32 v143, v81, v82
	v_fma_f32 v81, 0x3f62ad3f, v104, -v132
	v_fmamk_f32 v82, v105, 0x3eedf032, v136
	v_fma_f32 v144, 0xbf3f9e67, v104, -v138
	v_fmamk_f32 v145, v105, 0xbf29c268, v141
	v_add_f32_e32 v81, v81, v79
	v_add_f32_e32 v82, v82, v80
	;; [unrolled: 1-line block ×4, first 2 shown]
	s_barrier
	buffer_gl0_inv
	s_and_saveexec_b32 s2, vcc_lo
	s_cbranch_execz .LBB0_21
; %bb.20:
	v_mul_f32_e32 v144, 0xbf29c268, v96
	v_mul_f32_e32 v145, 0x3f7e222b, v97
	;; [unrolled: 1-line block ×5, first 2 shown]
	v_fmamk_f32 v142, v110, 0xbf3f9e67, v144
	v_fmamk_f32 v143, v112, 0x3df6dbef, v145
	v_mul_f32_e32 v171, 0x3eedf032, v103
	v_mul_f32_e32 v174, 0x3f7e222b, v107
	v_fma_f32 v173, 0xbf3f9e67, v94, -v170
	v_add_f32_e32 v142, v41, v142
	v_mul_f32_e32 v177, 0xbf52af12, v108
	v_mul_f32_e32 v179, 0xbf788fa5, v110
	v_fma_f32 v176, 0x3df6dbef, v95, -v174
	v_add_f32_e32 v173, v40, v173
	v_add_f32_e32 v142, v143, v142
	v_fmamk_f32 v143, v116, 0x3f116cb1, v146
	v_mul_f32_e32 v178, 0xbf6f5d39, v105
	v_fmamk_f32 v181, v96, 0x3e750f2a, v179
	v_mul_f32_e32 v182, 0x3f62ad3f, v112
	v_mul_f32_e32 v183, 0x3eedf032, v111
	v_add_f32_e32 v142, v143, v142
	v_fmamk_f32 v143, v114, 0xbf788fa5, v147
	v_fmamk_f32 v180, v120, 0xbeb58ec6, v178
	v_add_f32_e32 v181, v41, v181
	v_fmamk_f32 v184, v97, 0xbeedf032, v182
	v_mul_f32_e32 v185, 0xbf3f9e67, v116
	v_add_f32_e32 v142, v143, v142
	v_fmamk_f32 v143, v117, 0x3f62ad3f, v171
	v_fma_f32 v186, 0x3f62ad3f, v102, -v183
	v_mul_f32_e32 v187, 0xbeb58ec6, v117
	v_mul_f32_e32 v190, 0x3eedf032, v107
	v_fma_f32 v144, 0xbf3f9e67, v110, -v144
	v_add_f32_e32 v142, v143, v142
	v_add_f32_e32 v143, v176, v173
	v_fma_f32 v173, 0x3f116cb1, v98, -v177
	v_mul_f32_e32 v176, 0x3e750f2a, v109
	v_fmamk_f32 v191, v103, 0x3f6f5d39, v187
	v_mul_f32_e32 v192, 0x3f52af12, v109
	v_add_f32_e32 v144, v41, v144
	v_add_f32_e32 v143, v173, v143
	v_fma_f32 v173, 0xbf788fa5, v100, -v176
	v_fma_f32 v194, 0x3df6dbef, v112, -v145
	v_mul_f32_e32 v195, 0xbf6f5d39, v111
	v_fmac_f32_e32 v170, 0xbf3f9e67, v94
	v_fma_f32 v146, 0x3f116cb1, v116, -v146
	v_add_f32_e32 v173, v173, v143
	v_add_f32_e32 v143, v180, v142
	;; [unrolled: 1-line block ×3, first 2 shown]
	v_fmamk_f32 v180, v99, 0x3f29c268, v185
	v_mul_f32_e32 v181, 0x3f116cb1, v114
	v_add_f32_e32 v173, v186, v173
	v_mul_f32_e32 v184, 0xbf6f5d39, v115
	v_mul_f32_e32 v186, 0xbe750f2a, v106
	v_add_f32_e32 v142, v180, v142
	v_fmamk_f32 v180, v101, 0xbf52af12, v181
	v_add_f32_e32 v144, v194, v144
	v_fma_f32 v188, 0xbeb58ec6, v104, -v184
	v_fmamk_f32 v189, v94, 0xbf788fa5, v186
	v_add_f32_e32 v170, v40, v170
	v_add_f32_e32 v180, v180, v142
	v_fmac_f32_e32 v174, 0x3df6dbef, v95
	v_add_f32_e32 v142, v188, v173
	v_add_f32_e32 v173, v40, v189
	v_fmamk_f32 v188, v95, 0x3f62ad3f, v190
	v_mul_f32_e32 v189, 0xbf29c268, v108
	v_add_f32_e32 v180, v191, v180
	v_mul_f32_e32 v191, 0x3df6dbef, v120
	v_add_f32_e32 v144, v146, v144
	v_add_f32_e32 v173, v188, v173
	v_fmamk_f32 v188, v98, 0xbf3f9e67, v189
	v_fma_f32 v146, 0xbf788fa5, v114, -v147
	v_fmamk_f32 v193, v105, 0xbf7e222b, v191
	v_add_f32_e32 v170, v174, v170
	v_fmac_f32_e32 v177, 0x3f116cb1, v98
	v_add_f32_e32 v173, v188, v173
	v_fmamk_f32 v188, v100, 0x3f116cb1, v192
	v_add_f32_e32 v145, v193, v180
	v_fmamk_f32 v180, v102, 0xbeb58ec6, v195
	v_add_f32_e32 v146, v146, v144
	v_fma_f32 v171, 0x3f62ad3f, v117, -v171
	v_add_f32_e32 v173, v188, v173
	v_mul_f32_e32 v188, 0x3f7e222b, v115
	v_add_f32_e32 v170, v177, v170
	v_fmac_f32_e32 v176, 0xbf788fa5, v100
	v_add_f32_e32 v146, v171, v146
	v_add_f32_e32 v147, v180, v173
	v_fmamk_f32 v173, v104, 0x3df6dbef, v188
	v_mul_f32_e32 v180, 0xbeb58ec6, v110
	v_fma_f32 v177, 0xbeb58ec6, v120, -v178
	v_add_f32_e32 v170, v176, v170
	v_fmac_f32_e32 v183, 0x3f62ad3f, v102
	v_add_f32_e32 v144, v173, v147
	v_fmamk_f32 v147, v96, 0x3f6f5d39, v180
	v_mul_f32_e32 v173, 0xbf3f9e67, v112
	v_add_f32_e32 v43, v43, v41
	v_fmac_f32_e32 v184, 0xbeb58ec6, v104
	v_mul_f32_e32 v193, 0x3f29c268, v107
	v_add_f32_e32 v147, v41, v147
	v_fmamk_f32 v171, v97, 0xbf29c268, v173
	v_add_f32_e32 v43, v57, v43
	v_add_f32_e32 v42, v42, v40
	v_mul_f32_e32 v151, 0xbf7e222b, v96
	v_mul_f32_e32 v194, 0x3eedf032, v108
	v_add_f32_e32 v171, v171, v147
	v_add_f32_e32 v147, v177, v146
	;; [unrolled: 1-line block ×3, first 2 shown]
	v_mul_f32_e32 v170, 0xbf6f5d39, v106
	v_add_f32_e32 v43, v59, v43
	v_add_f32_e32 v42, v56, v42
	v_mul_f32_e32 v155, 0xbe750f2a, v97
	v_add_f32_e32 v146, v184, v146
	v_fmamk_f32 v183, v94, 0xbeb58ec6, v170
	v_fmamk_f32 v184, v95, 0xbf3f9e67, v193
	v_sub_f32_e32 v129, v129, v151
	v_mul_f32_e32 v56, 0xbeedf032, v106
	v_add_f32_e32 v43, v53, v43
	v_add_f32_e32 v183, v40, v183
	;; [unrolled: 1-line block ×3, first 2 shown]
	v_mul_f32_e32 v150, 0x3df6dbef, v94
	v_mul_f32_e32 v159, 0x3f6f5d39, v99
	v_add_f32_e32 v197, v41, v129
	v_add_f32_e32 v151, v184, v183
	v_fmamk_f32 v183, v98, 0x3f62ad3f, v194
	v_mul_f32_e32 v184, 0xbf7e222b, v109
	v_sub_f32_e32 v134, v134, v155
	v_fmamk_f32 v53, v94, 0x3f62ad3f, v56
	v_mul_f32_e32 v58, 0xbf52af12, v107
	v_add_f32_e32 v151, v183, v151
	v_fmamk_f32 v155, v100, 0x3df6dbef, v184
	v_mul_f32_e32 v183, 0x3e750f2a, v111
	v_add_f32_e32 v43, v55, v43
	v_add_f32_e32 v42, v52, v42
	v_mul_f32_e32 v149, 0xbf52af12, v96
	v_mul_f32_e32 v154, 0xbf788fa5, v95
	;; [unrolled: 1-line block ×3, first 2 shown]
	v_add_f32_e32 v134, v134, v197
	v_sub_f32_e32 v137, v137, v159
	v_add_f32_e32 v151, v155, v151
	v_fmamk_f32 v155, v102, 0xbf788fa5, v183
	v_mul_f32_e32 v159, 0x3f52af12, v115
	v_add_f32_e32 v125, v150, v125
	v_add_f32_e32 v52, v40, v53
	v_fmamk_f32 v53, v95, 0x3f116cb1, v58
	v_mul_f32_e32 v55, 0xbf7e222b, v108
	v_add_f32_e32 v43, v49, v43
	v_add_f32_e32 v42, v54, v42
	v_mul_f32_e32 v153, 0xbf6f5d39, v97
	v_mul_f32_e32 v158, 0xbeb58ec6, v98
	v_add_f32_e32 v134, v137, v134
	v_sub_f32_e32 v137, v139, v163
	v_add_f32_e32 v139, v155, v151
	v_fmamk_f32 v150, v104, 0x3f116cb1, v159
	v_add_f32_e32 v125, v40, v125
	v_add_f32_e32 v151, v154, v128
	v_sub_f32_e32 v119, v119, v149
	v_add_f32_e32 v52, v53, v52
	v_fmamk_f32 v53, v98, 0x3df6dbef, v55
	v_add_f32_e32 v43, v51, v43
	v_add_f32_e32 v42, v48, v42
	v_mul_f32_e32 v48, 0xbf6f5d39, v109
	v_mul_f32_e32 v148, 0x3f116cb1, v94
	;; [unrolled: 1-line block ×4, first 2 shown]
	v_add_f32_e32 v128, v150, v139
	v_add_f32_e32 v125, v151, v125
	;; [unrolled: 1-line block ×4, first 2 shown]
	v_sub_f32_e32 v122, v122, v153
	v_add_f32_e32 v52, v53, v52
	v_add_f32_e32 v45, v45, v43
	v_add_f32_e32 v42, v50, v42
	v_fmamk_f32 v50, v100, 0xbeb58ec6, v48
	v_mul_f32_e32 v53, 0xbf29c268, v111
	v_mul_f32_e32 v152, 0xbeb58ec6, v95
	;; [unrolled: 1-line block ×4, first 2 shown]
	v_add_f32_e32 v125, v130, v125
	v_add_f32_e32 v130, v162, v133
	v_add_f32_e32 v113, v148, v113
	v_add_f32_e32 v122, v122, v139
	v_sub_f32_e32 v124, v124, v157
	v_add_f32_e32 v45, v47, v45
	v_add_f32_e32 v42, v44, v42
	;; [unrolled: 1-line block ×3, first 2 shown]
	v_fmamk_f32 v47, v102, 0xbf3f9e67, v53
	v_mul_f32_e32 v50, 0xbe750f2a, v115
	v_mul_f32_e32 v156, 0xbf788fa5, v98
	;; [unrolled: 1-line block ×4, first 2 shown]
	v_add_f32_e32 v125, v130, v125
	v_add_f32_e32 v130, v166, v135
	;; [unrolled: 1-line block ×5, first 2 shown]
	v_sub_f32_e32 v124, v126, v161
	v_add_f32_e32 v37, v37, v45
	v_add_f32_e32 v42, v46, v42
	v_fmac_f32_e32 v179, 0xbe750f2a, v96
	v_add_f32_e32 v44, v47, v44
	v_fmamk_f32 v45, v104, 0xbf788fa5, v50
	v_mul_f32_e32 v160, 0xbf3f9e67, v100
	v_mul_f32_e32 v169, 0x3eedf032, v105
	v_add_f32_e32 v125, v130, v125
	v_add_f32_e32 v126, v172, v138
	;; [unrolled: 1-line block ×5, first 2 shown]
	v_sub_f32_e32 v124, v131, v165
	v_mul_f32_e32 v110, 0x3f62ad3f, v110
	v_add_f32_e32 v37, v39, v37
	v_add_f32_e32 v36, v36, v42
	;; [unrolled: 1-line block ×3, first 2 shown]
	v_fmac_f32_e32 v182, 0x3eedf032, v97
	v_add_f32_e32 v42, v45, v44
	v_fma_f32 v44, 0xbf788fa5, v94, -v186
	v_mul_f32_e32 v164, 0x3df6dbef, v102
	v_add_f32_e32 v118, v126, v125
	v_add_f32_e32 v113, v121, v113
	;; [unrolled: 1-line block ×4, first 2 shown]
	v_sub_f32_e32 v123, v136, v169
	v_fmamk_f32 v124, v96, 0x3eedf032, v110
	v_mul_f32_e32 v125, 0x3f116cb1, v112
	v_add_f32_e32 v36, v38, v36
	v_add_f32_e32 v38, v182, v39
	v_fmac_f32_e32 v185, 0xbf29c268, v99
	v_add_f32_e32 v39, v40, v44
	v_fma_f32 v44, 0x3f62ad3f, v95, -v190
	v_fmac_f32_e32 v180, 0xbf6f5d39, v96
	v_mul_f32_e32 v168, 0x3f62ad3f, v104
	v_mul_f32_e32 v174, 0x3f62ad3f, v116
	v_add_f32_e32 v112, v121, v113
	v_add_f32_e32 v121, v164, v127
	;; [unrolled: 1-line block ×4, first 2 shown]
	v_fmamk_f32 v123, v97, 0x3f52af12, v125
	v_mul_f32_e32 v116, 0x3df6dbef, v116
	v_add_f32_e32 v38, v185, v38
	v_fmac_f32_e32 v181, 0x3f52af12, v101
	v_add_f32_e32 v39, v44, v39
	v_fma_f32 v44, 0xbf3f9e67, v98, -v189
	v_add_f32_e32 v45, v41, v180
	v_fmac_f32_e32 v173, 0x3f29c268, v97
	v_mul_f32_e32 v178, 0x3df6dbef, v114
	v_add_f32_e32 v112, v121, v112
	v_add_f32_e32 v121, v168, v132
	;; [unrolled: 1-line block ×3, first 2 shown]
	v_fmamk_f32 v123, v99, 0x3f7e222b, v116
	v_mul_f32_e32 v114, 0xbeb58ec6, v114
	v_fmamk_f32 v176, v99, 0xbeedf032, v174
	v_add_f32_e32 v38, v181, v38
	v_fmac_f32_e32 v187, 0xbf6f5d39, v103
	v_add_f32_e32 v39, v44, v39
	v_fma_f32 v44, 0x3f116cb1, v100, -v192
	v_add_f32_e32 v45, v173, v45
	v_fmac_f32_e32 v174, 0x3eedf032, v99
	v_mul_f32_e32 v177, 0xbf788fa5, v117
	v_add_f32_e32 v112, v121, v112
	v_add_f32_e32 v57, v123, v122
	v_fmamk_f32 v121, v101, 0x3f6f5d39, v114
	v_mul_f32_e32 v117, 0xbf3f9e67, v117
	v_add_f32_e32 v171, v176, v171
	v_fmamk_f32 v176, v101, 0x3f7e222b, v178
	v_add_f32_e32 v38, v187, v38
	v_fmac_f32_e32 v191, 0x3f7e222b, v105
	v_add_f32_e32 v44, v44, v39
	v_fma_f32 v46, 0xbeb58ec6, v102, -v195
	v_add_f32_e32 v45, v174, v45
	v_fmac_f32_e32 v178, 0xbf7e222b, v101
	v_add_f32_e32 v57, v121, v57
	v_fmamk_f32 v59, v103, 0x3f29c268, v117
	v_mul_f32_e32 v49, 0xbf788fa5, v120
	v_add_f32_e32 v171, v176, v171
	v_fmamk_f32 v176, v103, 0xbe750f2a, v177
	v_add_f32_e32 v39, v191, v38
	v_fma_f32 v38, 0xbeb58ec6, v94, -v170
	v_add_f32_e32 v44, v46, v44
	v_fma_f32 v46, 0x3df6dbef, v104, -v188
	v_add_f32_e32 v45, v178, v45
	v_fmac_f32_e32 v177, 0x3e750f2a, v103
	v_add_f32_e32 v57, v59, v57
	v_fmamk_f32 v51, v105, 0x3e750f2a, v49
	v_add_f32_e32 v47, v40, v38
	v_add_f32_e32 v38, v46, v44
	v_fmac_f32_e32 v110, 0xbeedf032, v96
	v_add_f32_e32 v44, v177, v45
	v_fma_f32 v45, 0x3f62ad3f, v94, -v56
	v_add_f32_e32 v43, v51, v57
	v_fma_f32 v51, 0xbf3f9e67, v95, -v193
	v_add_f32_e32 v41, v41, v110
	v_fmac_f32_e32 v125, 0xbf52af12, v97
	v_add_f32_e32 v40, v40, v45
	v_fma_f32 v45, 0x3f116cb1, v95, -v58
	v_add_f32_e32 v46, v51, v47
	v_fma_f32 v47, 0x3f62ad3f, v98, -v194
	v_add_f32_e32 v41, v125, v41
	v_fmac_f32_e32 v116, 0xbf7e222b, v99
	v_add_f32_e32 v40, v45, v40
	v_fma_f32 v45, 0x3df6dbef, v98, -v55
	v_mul_f32_e32 v167, 0xbf52af12, v103
	v_add_f32_e32 v46, v47, v46
	v_fma_f32 v47, 0x3df6dbef, v100, -v184
	v_add_f32_e32 v41, v116, v41
	v_fmac_f32_e32 v114, 0xbf6f5d39, v101
	v_add_f32_e32 v40, v45, v40
	v_fma_f32 v45, 0xbeb58ec6, v100, -v48
	v_mul_f32_e32 v175, 0xbf29c268, v105
	v_add_f32_e32 v134, v137, v134
	v_sub_f32_e32 v137, v140, v167
	v_add_f32_e32 v171, v176, v171
	v_mul_f32_e32 v176, 0x3f116cb1, v120
	v_add_f32_e32 v46, v47, v46
	v_fma_f32 v47, 0xbf788fa5, v102, -v183
	v_add_f32_e32 v41, v114, v41
	v_fmac_f32_e32 v117, 0xbf29c268, v103
	v_add_f32_e32 v40, v45, v40
	v_fma_f32 v45, 0xbf3f9e67, v102, -v53
	v_mov_b32_e32 v48, 3
	v_add_f32_e32 v134, v137, v134
	v_sub_f32_e32 v137, v141, v175
	v_fmamk_f32 v196, v105, 0xbf52af12, v176
	v_fmac_f32_e32 v176, 0x3f52af12, v105
	v_add_f32_e32 v46, v47, v46
	v_fma_f32 v47, 0x3f116cb1, v104, -v159
	v_add_f32_e32 v37, v62, v37
	v_add_f32_e32 v36, v61, v36
	;; [unrolled: 1-line block ×3, first 2 shown]
	v_fmac_f32_e32 v49, 0xbe750f2a, v105
	v_add_f32_e32 v52, v45, v40
	v_fma_f32 v50, 0xbf788fa5, v104, -v50
	v_lshlrev_b32_sdwa v48, v48, v85 dst_sel:DWORD dst_unused:UNUSED_PAD src0_sel:DWORD src1_sel:WORD_0
	v_add_f32_e32 v119, v137, v134
	v_add_f32_e32 v129, v196, v171
	;; [unrolled: 1-line block ×6, first 2 shown]
	ds_write2_b64 v48, v[36:37], v[42:43] offset1:1
	ds_write2_b64 v48, v[112:113], v[118:119] offset0:2 offset1:3
	ds_write2_b64 v48, v[128:129], v[146:147] offset0:4 offset1:5
	;; [unrolled: 1-line block ×5, first 2 shown]
	ds_write_b64 v48, v[44:45] offset:96
.LBB0_21:
	s_or_b32 exec_lo, exec_lo, s2
	v_add_nc_u32_e32 v36, 0x1300, v83
	v_add_nc_u32_e32 v40, 0x1e00, v83
	;; [unrolled: 1-line block ×4, first 2 shown]
	s_waitcnt lgkmcnt(0)
	s_barrier
	buffer_gl0_inv
	ds_read2_b64 v[44:47], v83 offset1:156
	ds_read2_b64 v[36:39], v36 offset0:16 offset1:250
	ds_read2_b64 v[52:55], v40 offset0:54 offset1:210
	;; [unrolled: 1-line block ×4, first 2 shown]
	s_and_saveexec_b32 s2, s0
	s_cbranch_execz .LBB0_23
; %bb.22:
	ds_read_b64 v[79:80], v83 offset:6240
	ds_read_b64 v[81:82], v83 offset:13104
.LBB0_23:
	s_or_b32 exec_lo, exec_lo, s2
	s_waitcnt lgkmcnt(3)
	v_mul_f32_e32 v56, v76, v39
	v_mul_f32_e32 v57, v76, v38
	s_waitcnt lgkmcnt(2)
	v_mul_f32_e32 v58, v74, v53
	v_mul_f32_e32 v59, v74, v52
	s_waitcnt lgkmcnt(0)
	v_mul_f32_e32 v61, v68, v51
	v_fmac_f32_e32 v56, v75, v38
	v_fma_f32 v38, v75, v39, -v57
	v_fmac_f32_e32 v58, v73, v52
	v_mul_f32_e32 v39, v72, v55
	v_fma_f32 v53, v73, v53, -v59
	v_mul_f32_e32 v52, v72, v54
	v_mul_f32_e32 v59, v70, v48
	;; [unrolled: 1-line block ×3, first 2 shown]
	v_fmac_f32_e32 v39, v71, v54
	v_fmac_f32_e32 v61, v67, v50
	v_fma_f32 v55, v71, v55, -v52
	v_fma_f32 v62, v69, v49, -v59
	v_mul_f32_e32 v49, v68, v50
	v_mul_f32_e32 v68, v66, v82
	;; [unrolled: 1-line block ×3, first 2 shown]
	v_fmac_f32_e32 v57, v69, v48
	v_sub_f32_e32 v48, v44, v56
	v_fma_f32 v66, v67, v51, -v49
	v_sub_f32_e32 v49, v45, v38
	v_fmac_f32_e32 v68, v65, v81
	v_fma_f32 v65, v65, v82, -v50
	v_sub_f32_e32 v52, v46, v58
	v_sub_f32_e32 v53, v47, v53
	;; [unrolled: 1-line block ×4, first 2 shown]
	v_fma_f32 v50, v44, 2.0, -v48
	v_fma_f32 v51, v45, 2.0, -v49
	;; [unrolled: 1-line block ×3, first 2 shown]
	v_sub_f32_e32 v44, v42, v57
	v_fma_f32 v57, v47, 2.0, -v53
	v_fma_f32 v58, v40, 2.0, -v54
	;; [unrolled: 1-line block ×3, first 2 shown]
	v_sub_f32_e32 v45, v43, v62
	v_sub_f32_e32 v40, v36, v61
	;; [unrolled: 1-line block ×5, first 2 shown]
	v_fma_f32 v38, v42, 2.0, -v44
	v_fma_f32 v39, v43, 2.0, -v45
	;; [unrolled: 1-line block ×6, first 2 shown]
	s_barrier
	buffer_gl0_inv
	ds_write2_b64 v92, v[50:51], v[48:49] offset1:13
	ds_write2_b64 v91, v[56:57], v[52:53] offset1:13
	;; [unrolled: 1-line block ×5, first 2 shown]
	s_and_saveexec_b32 s2, s0
	s_cbranch_execz .LBB0_25
; %bb.24:
	v_mov_b32_e32 v48, 3
	v_lshlrev_b32_sdwa v48, v48, v87 dst_sel:DWORD dst_unused:UNUSED_PAD src0_sel:DWORD src1_sel:WORD_0
	ds_write2_b64 v48, v[42:43], v[46:47] offset1:13
.LBB0_25:
	s_or_b32 exec_lo, exec_lo, s2
	s_waitcnt lgkmcnt(0)
	s_barrier
	buffer_gl0_inv
	ds_read_b64 v[48:49], v83
	ds_read_b64 v[58:59], v83 offset:2288
	ds_read_b64 v[56:57], v83 offset:4576
	;; [unrolled: 1-line block ×5, first 2 shown]
	s_and_saveexec_b32 s0, s1
	s_cbranch_execz .LBB0_27
; %bb.26:
	ds_read_b64 v[38:39], v83 offset:1248
	ds_read_b64 v[44:45], v83 offset:3536
	ds_read_b64 v[36:37], v83 offset:5824
	ds_read_b64 v[40:41], v83 offset:8112
	ds_read_b64 v[42:43], v83 offset:10400
	ds_read_b64 v[46:47], v83 offset:12688
.LBB0_27:
	s_or_b32 exec_lo, exec_lo, s0
	s_waitcnt lgkmcnt(3)
	v_mul_f32_e32 v62, v19, v57
	v_mul_f32_e32 v61, v17, v59
	v_mul_f32_e32 v17, v17, v58
	v_mul_f32_e32 v19, v19, v56
	s_waitcnt lgkmcnt(0)
	v_fmac_f32_e32 v62, v18, v56
	v_mul_f32_e32 v56, v11, v53
	v_fmac_f32_e32 v61, v16, v58
	v_fma_f32 v16, v16, v59, -v17
	v_mul_f32_e32 v17, v9, v55
	v_mul_f32_e32 v9, v9, v54
	;; [unrolled: 1-line block ×3, first 2 shown]
	v_fmac_f32_e32 v56, v10, v52
	v_fma_f32 v18, v18, v57, -v19
	v_fmac_f32_e32 v17, v8, v54
	v_mul_f32_e32 v19, v78, v51
	v_fma_f32 v8, v8, v55, -v9
	v_mul_f32_e32 v9, v78, v50
	v_fma_f32 v10, v10, v53, -v11
	v_add_f32_e32 v11, v62, v56
	v_fmac_f32_e32 v19, v77, v50
	v_add_f32_e32 v50, v48, v62
	v_fma_f32 v9, v77, v51, -v9
	v_add_f32_e32 v51, v18, v10
	v_fma_f32 v48, -0.5, v11, v48
	v_sub_f32_e32 v11, v18, v10
	v_add_f32_e32 v18, v49, v18
	v_add_f32_e32 v50, v50, v56
	v_fmac_f32_e32 v49, -0.5, v51
	v_sub_f32_e32 v51, v62, v56
	v_fmamk_f32 v52, v11, 0xbf5db3d7, v48
	v_fmac_f32_e32 v48, 0x3f5db3d7, v11
	v_add_f32_e32 v11, v8, v9
	v_add_f32_e32 v53, v18, v10
	;; [unrolled: 1-line block ×4, first 2 shown]
	v_sub_f32_e32 v8, v8, v9
	v_fmac_f32_e32 v16, -0.5, v11
	v_sub_f32_e32 v11, v17, v19
	v_add_f32_e32 v17, v61, v17
	v_fmac_f32_e32 v61, -0.5, v10
	v_fmamk_f32 v54, v51, 0x3f5db3d7, v49
	v_fmac_f32_e32 v49, 0xbf5db3d7, v51
	v_fmamk_f32 v10, v11, 0x3f5db3d7, v16
	v_fmac_f32_e32 v16, 0xbf5db3d7, v11
	;; [unrolled: 2-line block ×3, first 2 shown]
	v_add_f32_e32 v19, v17, v19
	v_mul_f32_e32 v51, 0xbf5db3d7, v10
	v_mul_f32_e32 v57, 0.5, v10
	v_mul_f32_e32 v55, 0xbf5db3d7, v16
	v_mul_f32_e32 v58, -0.5, v16
	v_add_f32_e32 v56, v18, v9
	v_fmac_f32_e32 v51, 0.5, v11
	v_fmac_f32_e32 v57, 0x3f5db3d7, v11
	v_fmac_f32_e32 v55, -0.5, v61
	v_fmac_f32_e32 v58, 0x3f5db3d7, v61
	v_add_f32_e32 v8, v50, v19
	v_add_f32_e32 v10, v52, v51
	v_add_f32_e32 v9, v53, v56
	v_add_f32_e32 v11, v54, v57
	v_add_f32_e32 v16, v48, v55
	v_add_f32_e32 v17, v49, v58
	v_sub_f32_e32 v18, v50, v19
	v_sub_f32_e32 v19, v53, v56
	;; [unrolled: 1-line block ×6, first 2 shown]
	s_barrier
	buffer_gl0_inv
	ds_write2_b64 v93, v[8:9], v[10:11] offset1:26
	ds_write2_b64 v93, v[16:17], v[18:19] offset0:52 offset1:78
	ds_write2_b64 v93, v[50:51], v[48:49] offset0:104 offset1:130
	s_and_saveexec_b32 s0, s1
	s_cbranch_execz .LBB0_29
; %bb.28:
	v_mul_f32_e32 v10, v1, v41
	v_mul_f32_e32 v1, v1, v40
	;; [unrolled: 1-line block ×6, first 2 shown]
	v_fma_f32 v18, v0, v41, -v1
	v_fma_f32 v11, v63, v47, -v11
	v_mul_f32_e32 v9, v3, v42
	v_mul_f32_e32 v5, v5, v45
	v_fmac_f32_e32 v10, v0, v40
	v_fmac_f32_e32 v16, v63, v46
	v_fma_f32 v0, v4, v45, -v17
	v_add_f32_e32 v17, v18, v11
	v_fma_f32 v8, v6, v37, -v8
	v_fma_f32 v9, v2, v43, -v9
	v_mul_f32_e32 v7, v7, v37
	v_mul_f32_e32 v19, v3, v43
	v_fmac_f32_e32 v5, v4, v44
	v_add_f32_e32 v3, v10, v16
	v_fma_f32 v4, -0.5, v17, v0
	v_sub_f32_e32 v17, v10, v16
	v_add_f32_e32 v1, v9, v8
	v_fmac_f32_e32 v7, v6, v36
	v_fmac_f32_e32 v19, v2, v42
	v_fma_f32 v2, -0.5, v3, v5
	v_sub_f32_e32 v3, v18, v11
	v_fmamk_f32 v6, v17, 0xbf5db3d7, v4
	v_fma_f32 v36, -0.5, v1, v39
	v_fmac_f32_e32 v4, 0x3f5db3d7, v17
	v_add_f32_e32 v39, v8, v39
	v_fmamk_f32 v17, v3, 0x3f5db3d7, v2
	v_mul_f32_e32 v37, -0.5, v6
	v_add_f32_e32 v42, v19, v7
	v_add_f32_e32 v0, v0, v18
	v_mul_f32_e32 v6, 0xbf5db3d7, v6
	v_sub_f32_e32 v1, v7, v19
	v_fmac_f32_e32 v2, 0xbf5db3d7, v3
	v_mul_f32_e32 v40, 0.5, v4
	v_fmac_f32_e32 v37, 0x3f5db3d7, v17
	v_add_f32_e32 v18, v9, v39
	v_fma_f32 v39, -0.5, v42, v38
	v_sub_f32_e32 v8, v8, v9
	v_add_f32_e32 v11, v0, v11
	v_add_f32_e32 v0, v38, v7
	;; [unrolled: 1-line block ×3, first 2 shown]
	v_fmac_f32_e32 v6, -0.5, v17
	v_mul_f32_e32 v17, 0xbf5db3d7, v4
	v_fmamk_f32 v41, v1, 0xbf5db3d7, v36
	v_fmac_f32_e32 v36, 0x3f5db3d7, v1
	v_fmac_f32_e32 v40, 0x3f5db3d7, v2
	v_fmamk_f32 v38, v8, 0x3f5db3d7, v39
	v_add_f32_e32 v10, v19, v0
	v_add_f32_e32 v16, v5, v16
	v_fmac_f32_e32 v39, 0xbf5db3d7, v8
	v_fmac_f32_e32 v17, 0.5, v2
	v_mov_b32_e32 v2, 3
	v_sub_f32_e32 v5, v18, v11
	v_sub_f32_e32 v4, v10, v16
	v_add_f32_e32 v9, v40, v36
	v_add_f32_e32 v11, v11, v18
	v_add_f32_e32 v8, v17, v39
	v_add_f32_e32 v10, v16, v10
	v_lshlrev_b32_sdwa v16, v2, v86 dst_sel:DWORD dst_unused:UNUSED_PAD src0_sel:DWORD src1_sel:WORD_0
	v_sub_f32_e32 v0, v38, v6
	v_add_f32_e32 v7, v37, v41
	v_add_f32_e32 v6, v6, v38
	v_sub_f32_e32 v1, v41, v37
	v_sub_f32_e32 v3, v36, v40
	;; [unrolled: 1-line block ×3, first 2 shown]
	ds_write2_b64 v16, v[10:11], v[8:9] offset1:26
	ds_write2_b64 v16, v[6:7], v[4:5] offset0:52 offset1:78
	ds_write2_b64 v16, v[2:3], v[0:1] offset0:104 offset1:130
.LBB0_29:
	s_or_b32 exec_lo, exec_lo, s0
	s_waitcnt lgkmcnt(0)
	s_barrier
	buffer_gl0_inv
	ds_read2_b64 v[1:4], v83 offset1:156
	v_add_nc_u32_e32 v0, 0x800, v83
	ds_read_b64 v[9:10], v83 offset:4992
	ds_read2_b64 v[5:8], v0 offset0:56 offset1:212
	v_add_nc_u32_e32 v11, 0x1800, v83
	v_add_nc_u32_e32 v40, 0x2a00, v83
	ds_read2_b64 v[16:19], v11 offset0:12 offset1:168
	v_add_nc_u32_e32 v11, 0x2000, v83
	ds_read2_b64 v[40:43], v40 offset0:60 offset1:216
	ds_read2_b64 v[36:39], v11 offset0:68 offset1:224
	s_waitcnt lgkmcnt(5)
	v_mul_f32_e32 v11, v33, v4
	v_mul_f32_e32 v33, v33, v3
	s_waitcnt lgkmcnt(4)
	v_mul_f32_e32 v44, v31, v10
	v_fmac_f32_e32 v11, v32, v3
	v_fma_f32 v3, v32, v4, -v33
	s_waitcnt lgkmcnt(3)
	v_mul_f32_e32 v32, v35, v6
	v_mul_f32_e32 v4, v35, v5
	v_mul_f32_e32 v33, v29, v8
	v_mul_f32_e32 v29, v29, v7
	v_mul_f32_e32 v31, v31, v9
	v_fmac_f32_e32 v32, v34, v5
	v_fma_f32 v5, v34, v6, -v4
	v_add_f32_e32 v4, v1, v11
	v_fma_f32 v6, v28, v8, -v29
	v_add_f32_e32 v8, v2, v3
	v_fmac_f32_e32 v33, v28, v7
	v_fmac_f32_e32 v44, v30, v9
	v_add_f32_e32 v4, v4, v32
	v_fma_f32 v9, v30, v10, -v31
	v_add_f32_e32 v8, v8, v5
	s_waitcnt lgkmcnt(2)
	v_mul_f32_e32 v10, v21, v17
	v_mul_f32_e32 v21, v21, v16
	v_add_f32_e32 v4, v4, v33
	v_mul_f32_e32 v7, v23, v19
	v_add_f32_e32 v8, v8, v6
	v_fmac_f32_e32 v10, v20, v16
	v_fma_f32 v16, v20, v17, -v21
	v_mul_f32_e32 v17, v23, v18
	v_add_f32_e32 v4, v4, v44
	v_add_f32_e32 v8, v8, v9
	v_fmac_f32_e32 v7, v22, v18
	s_waitcnt lgkmcnt(0)
	v_mul_f32_e32 v18, v13, v37
	v_mul_f32_e32 v13, v13, v36
	v_fma_f32 v17, v22, v19, -v17
	v_add_f32_e32 v4, v4, v10
	v_add_f32_e32 v8, v8, v16
	v_fmac_f32_e32 v18, v12, v36
	v_fma_f32 v12, v12, v37, -v13
	v_mul_f32_e32 v13, v15, v39
	v_mul_f32_e32 v15, v15, v38
	v_add_f32_e32 v4, v4, v7
	v_add_f32_e32 v8, v8, v17
	v_mul_f32_e32 v19, v25, v41
	v_fmac_f32_e32 v13, v14, v38
	v_fma_f32 v14, v14, v39, -v15
	v_mul_f32_e32 v15, v27, v42
	v_mul_f32_e32 v21, v25, v40
	v_add_f32_e32 v4, v4, v18
	v_add_f32_e32 v8, v8, v12
	v_fmac_f32_e32 v19, v24, v40
	v_mul_f32_e32 v20, v27, v43
	v_fma_f32 v15, v26, v43, -v15
	v_fma_f32 v21, v24, v41, -v21
	v_add_f32_e32 v4, v4, v13
	v_add_f32_e32 v8, v8, v14
	v_fmac_f32_e32 v20, v26, v42
	v_sub_f32_e32 v22, v3, v15
	v_add_f32_e32 v24, v3, v15
	v_add_f32_e32 v3, v4, v19
	;; [unrolled: 1-line block ×4, first 2 shown]
	v_mul_f32_e32 v25, 0xbf0a6770, v22
	v_sub_f32_e32 v8, v11, v20
	v_mul_f32_e32 v11, 0x3f575c64, v24
	v_add_f32_e32 v4, v4, v15
	v_mul_f32_e32 v15, 0xbf68dda4, v22
	v_mul_f32_e32 v28, 0x3ed4b147, v24
	;; [unrolled: 1-line block ×8, first 2 shown]
	v_sub_f32_e32 v41, v5, v21
	v_fmamk_f32 v26, v23, 0x3f575c64, v25
	v_fma_f32 v25, 0x3f575c64, v23, -v25
	v_fmamk_f32 v27, v23, 0x3ed4b147, v15
	v_fma_f32 v15, 0x3ed4b147, v23, -v15
	;; [unrolled: 2-line block ×4, first 2 shown]
	v_fmamk_f32 v40, v23, 0xbf75a155, v22
	v_fmamk_f32 v42, v8, 0x3e903f40, v24
	v_fma_f32 v22, 0xbf75a155, v23, -v22
	v_add_f32_e32 v5, v5, v21
	v_add_f32_e32 v21, v32, v19
	v_mul_f32_e32 v23, 0xbf68dda4, v41
	v_add_f32_e32 v3, v3, v20
	v_fmamk_f32 v20, v8, 0x3f0a6770, v11
	v_add_f32_e32 v26, v1, v26
	v_fmac_f32_e32 v11, 0xbf0a6770, v8
	v_fmamk_f32 v30, v8, 0x3f68dda4, v28
	v_fmac_f32_e32 v28, 0xbf68dda4, v8
	v_fmamk_f32 v35, v8, 0x3f7d64f0, v31
	;; [unrolled: 2-line block ×3, first 2 shown]
	v_fmac_f32_e32 v37, 0xbf4178ce, v8
	v_fmac_f32_e32 v24, 0xbe903f40, v8
	v_sub_f32_e32 v8, v32, v19
	v_mul_f32_e32 v19, 0x3ed4b147, v5
	v_add_f32_e32 v32, v2, v42
	v_fmamk_f32 v42, v21, 0x3ed4b147, v23
	v_add_f32_e32 v20, v2, v20
	v_add_f32_e32 v25, v1, v25
	;; [unrolled: 1-line block ×18, first 2 shown]
	v_fmamk_f32 v22, v8, 0x3f68dda4, v19
	v_mul_f32_e32 v24, 0xbf4178ce, v41
	v_add_f32_e32 v26, v42, v26
	v_fma_f32 v23, 0x3ed4b147, v21, -v23
	v_fmac_f32_e32 v19, 0xbf68dda4, v8
	v_mul_f32_e32 v42, 0xbf27a4f4, v5
	v_add_f32_e32 v20, v22, v20
	v_fmamk_f32 v22, v21, 0xbf27a4f4, v24
	v_add_f32_e32 v23, v23, v25
	v_add_f32_e32 v11, v19, v11
	v_mul_f32_e32 v19, 0x3e903f40, v41
	v_fmamk_f32 v25, v8, 0x3f4178ce, v42
	v_fma_f32 v24, 0xbf27a4f4, v21, -v24
	v_fmac_f32_e32 v42, 0xbf4178ce, v8
	v_mul_f32_e32 v43, 0xbf75a155, v5
	v_add_f32_e32 v22, v22, v27
	v_fmamk_f32 v27, v21, 0xbf75a155, v19
	v_add_f32_e32 v25, v25, v30
	v_add_f32_e32 v15, v24, v15
	v_add_f32_e32 v24, v42, v28
	v_fmamk_f32 v28, v8, 0xbe903f40, v43
	v_mul_f32_e32 v30, 0x3f7d64f0, v41
	v_add_f32_e32 v27, v27, v34
	v_fma_f32 v19, 0xbf75a155, v21, -v19
	v_mul_f32_e32 v34, 0xbe11bafb, v5
	v_add_f32_e32 v28, v28, v35
	v_fmamk_f32 v35, v21, 0xbe11bafb, v30
	v_mul_f32_e32 v41, 0x3f0a6770, v41
	v_fma_f32 v30, 0xbe11bafb, v21, -v30
	v_add_f32_e32 v19, v19, v29
	v_fmamk_f32 v29, v8, 0xbf7d64f0, v34
	v_add_f32_e32 v35, v35, v38
	v_fmac_f32_e32 v34, 0x3f7d64f0, v8
	v_fmamk_f32 v38, v21, 0x3f575c64, v41
	v_add_f32_e32 v30, v30, v36
	v_sub_f32_e32 v36, v6, v14
	v_add_f32_e32 v29, v29, v39
	v_mul_f32_e32 v5, 0x3f575c64, v5
	v_add_f32_e32 v34, v34, v37
	v_add_f32_e32 v37, v38, v40
	;; [unrolled: 1-line block ×3, first 2 shown]
	v_mul_f32_e32 v40, 0xbf7d64f0, v36
	v_add_f32_e32 v6, v6, v14
	v_fmac_f32_e32 v43, 0x3e903f40, v8
	v_fmamk_f32 v38, v8, 0xbf0a6770, v5
	v_fma_f32 v14, 0x3f575c64, v21, -v41
	v_fmac_f32_e32 v5, 0x3f0a6770, v8
	v_sub_f32_e32 v8, v33, v13
	v_fmamk_f32 v13, v39, 0xbe11bafb, v40
	v_mul_f32_e32 v21, 0xbe11bafb, v6
	v_add_f32_e32 v1, v14, v1
	v_add_f32_e32 v2, v5, v2
	v_mul_f32_e32 v14, 0x3e903f40, v36
	v_add_f32_e32 v5, v13, v26
	v_fmamk_f32 v13, v8, 0x3f7d64f0, v21
	v_fma_f32 v26, 0xbe11bafb, v39, -v40
	v_fmac_f32_e32 v21, 0xbf7d64f0, v8
	v_mul_f32_e32 v33, 0xbf75a155, v6
	v_add_f32_e32 v32, v38, v32
	v_add_f32_e32 v13, v13, v20
	v_fmamk_f32 v20, v39, 0xbf75a155, v14
	v_add_f32_e32 v23, v26, v23
	v_add_f32_e32 v11, v21, v11
	v_fmamk_f32 v21, v8, 0xbe903f40, v33
	v_mul_f32_e32 v26, 0x3f68dda4, v36
	v_add_f32_e32 v20, v20, v22
	v_fma_f32 v14, 0xbf75a155, v39, -v14
	v_fmac_f32_e32 v33, 0x3e903f40, v8
	v_add_f32_e32 v21, v21, v25
	v_fmamk_f32 v22, v39, 0x3ed4b147, v26
	v_mul_f32_e32 v25, 0x3ed4b147, v6
	v_add_f32_e32 v14, v14, v15
	v_add_f32_e32 v15, v33, v24
	v_mul_f32_e32 v24, 0xbf0a6770, v36
	v_add_f32_e32 v22, v22, v27
	v_fmamk_f32 v27, v8, 0xbf68dda4, v25
	v_mul_f32_e32 v38, 0x3f575c64, v6
	v_fma_f32 v26, 0x3ed4b147, v39, -v26
	v_fmamk_f32 v33, v39, 0x3f575c64, v24
	v_mul_f32_e32 v6, 0xbf27a4f4, v6
	v_add_f32_e32 v27, v27, v28
	v_fmamk_f32 v28, v8, 0x3f0a6770, v38
	v_fma_f32 v24, 0x3f575c64, v39, -v24
	v_fmac_f32_e32 v38, 0xbf0a6770, v8
	v_add_f32_e32 v31, v43, v31
	v_fmac_f32_e32 v25, 0x3f68dda4, v8
	v_add_f32_e32 v19, v26, v19
	v_add_f32_e32 v26, v33, v35
	v_fmamk_f32 v33, v8, 0x3f4178ce, v6
	v_add_f32_e32 v24, v24, v30
	v_add_f32_e32 v30, v38, v34
	v_sub_f32_e32 v34, v9, v12
	v_add_f32_e32 v25, v25, v31
	v_mul_f32_e32 v31, 0xbf4178ce, v36
	v_add_f32_e32 v32, v33, v32
	v_add_f32_e32 v33, v44, v18
	;; [unrolled: 1-line block ×3, first 2 shown]
	v_mul_f32_e32 v12, 0xbf4178ce, v34
	v_fmac_f32_e32 v6, 0xbf4178ce, v8
	v_add_f32_e32 v28, v28, v29
	v_fmamk_f32 v29, v39, 0xbf27a4f4, v31
	v_fma_f32 v31, 0xbf27a4f4, v39, -v31
	v_sub_f32_e32 v8, v44, v18
	v_mul_f32_e32 v18, 0xbf27a4f4, v9
	v_fmamk_f32 v35, v33, 0xbf27a4f4, v12
	v_add_f32_e32 v2, v6, v2
	v_mul_f32_e32 v6, 0x3f7d64f0, v34
	v_add_f32_e32 v1, v31, v1
	v_fmamk_f32 v31, v8, 0x3f4178ce, v18
	v_add_f32_e32 v5, v35, v5
	v_fmac_f32_e32 v18, 0xbf4178ce, v8
	v_fmamk_f32 v35, v33, 0xbe11bafb, v6
	v_fma_f32 v12, 0xbf27a4f4, v33, -v12
	v_add_f32_e32 v13, v31, v13
	v_mul_f32_e32 v31, 0xbe11bafb, v9
	v_add_f32_e32 v11, v18, v11
	v_add_f32_e32 v18, v35, v20
	v_fma_f32 v6, 0xbe11bafb, v33, -v6
	v_mul_f32_e32 v35, 0x3f575c64, v9
	v_add_f32_e32 v12, v12, v23
	v_mul_f32_e32 v20, 0xbf0a6770, v34
	v_fmamk_f32 v23, v8, 0xbf7d64f0, v31
	v_add_f32_e32 v14, v6, v14
	v_fmamk_f32 v6, v8, 0x3f0a6770, v35
	v_fmac_f32_e32 v31, 0x3f7d64f0, v8
	v_fmamk_f32 v36, v33, 0x3f575c64, v20
	v_add_f32_e32 v21, v23, v21
	v_mul_f32_e32 v23, 0xbe903f40, v34
	v_fma_f32 v20, 0x3f575c64, v33, -v20
	v_fmac_f32_e32 v35, 0xbf0a6770, v8
	v_add_f32_e32 v27, v6, v27
	v_mul_f32_e32 v6, 0xbf75a155, v9
	v_add_f32_e32 v15, v31, v15
	v_fmamk_f32 v31, v33, 0xbf75a155, v23
	v_add_f32_e32 v19, v20, v19
	v_add_f32_e32 v20, v35, v25
	v_mul_f32_e32 v25, 0x3f68dda4, v34
	v_fmamk_f32 v34, v8, 0x3e903f40, v6
	v_fma_f32 v23, 0xbf75a155, v33, -v23
	v_fmac_f32_e32 v6, 0xbe903f40, v8
	v_add_f32_e32 v29, v29, v37
	v_add_f32_e32 v26, v31, v26
	v_fmamk_f32 v31, v33, 0x3ed4b147, v25
	v_mul_f32_e32 v9, 0x3ed4b147, v9
	v_add_f32_e32 v23, v23, v24
	v_add_f32_e32 v24, v6, v30
	v_sub_f32_e32 v30, v16, v17
	v_add_f32_e32 v29, v31, v29
	v_fmamk_f32 v6, v8, 0xbf68dda4, v9
	v_add_f32_e32 v16, v16, v17
	v_add_f32_e32 v31, v10, v7
	v_mul_f32_e32 v17, 0xbe903f40, v30
	v_fma_f32 v25, 0x3ed4b147, v33, -v25
	v_add_f32_e32 v32, v6, v32
	v_fmac_f32_e32 v9, 0x3f68dda4, v8
	v_sub_f32_e32 v33, v10, v7
	v_fmamk_f32 v6, v31, 0xbf75a155, v17
	v_mul_f32_e32 v7, 0xbf75a155, v16
	v_add_f32_e32 v25, v25, v1
	v_mul_f32_e32 v8, 0x3f0a6770, v30
	v_add_f32_e32 v28, v34, v28
	v_add_f32_e32 v1, v6, v5
	v_fma_f32 v5, 0xbf75a155, v31, -v17
	v_add_f32_e32 v34, v9, v2
	v_fmamk_f32 v2, v33, 0x3e903f40, v7
	v_fmac_f32_e32 v7, 0xbe903f40, v33
	v_fmamk_f32 v9, v31, 0x3f575c64, v8
	v_mul_f32_e32 v10, 0x3f575c64, v16
	v_add_f32_e32 v5, v5, v12
	v_mul_f32_e32 v12, 0xbf4178ce, v30
	v_add_f32_e32 v22, v36, v22
	v_add_f32_e32 v2, v2, v13
	;; [unrolled: 1-line block ×4, first 2 shown]
	v_fmamk_f32 v9, v33, 0xbf0a6770, v10
	v_fma_f32 v11, 0x3f575c64, v31, -v8
	v_fmac_f32_e32 v10, 0x3f0a6770, v33
	v_fmamk_f32 v13, v31, 0xbf27a4f4, v12
	v_mul_f32_e32 v17, 0xbf27a4f4, v16
	v_add_f32_e32 v8, v9, v21
	v_add_f32_e32 v9, v11, v14
	;; [unrolled: 1-line block ×4, first 2 shown]
	v_fmamk_f32 v13, v33, 0x3f4178ce, v17
	v_mul_f32_e32 v15, 0x3f68dda4, v30
	v_fma_f32 v14, 0xbf27a4f4, v31, -v12
	v_fmac_f32_e32 v17, 0xbf4178ce, v33
	v_mul_f32_e32 v18, 0x3ed4b147, v16
	v_add_f32_e32 v12, v13, v27
	v_fmamk_f32 v21, v31, 0x3ed4b147, v15
	v_add_f32_e32 v13, v14, v19
	v_add_f32_e32 v14, v17, v20
	v_fmamk_f32 v17, v33, 0xbf68dda4, v18
	v_fma_f32 v19, 0x3ed4b147, v31, -v15
	v_mul_f32_e32 v20, 0xbf7d64f0, v30
	v_mul_f32_e32 v22, 0xbe11bafb, v16
	v_add_f32_e32 v15, v21, v26
	v_add_f32_e32 v16, v17, v28
	;; [unrolled: 1-line block ×3, first 2 shown]
	v_fmamk_f32 v19, v31, 0xbe11bafb, v20
	v_fmamk_f32 v21, v33, 0x3f7d64f0, v22
	v_fmac_f32_e32 v18, 0x3f68dda4, v33
	v_fma_f32 v23, 0xbe11bafb, v31, -v20
	v_fmac_f32_e32 v22, 0xbf7d64f0, v33
	ds_write2_b64 v83, v[3:4], v[1:2] offset1:156
	v_add_nc_u32_e32 v1, 0x1c00, v83
	v_add_nc_u32_e32 v2, 0x2400, v83
	v_add_f32_e32 v19, v19, v29
	v_add_f32_e32 v20, v21, v32
	v_add_f32_e32 v18, v18, v24
	v_add_f32_e32 v21, v23, v25
	v_add_f32_e32 v22, v22, v34
	ds_write2_b64 v0, v[7:8], v[11:12] offset0:56 offset1:212
	ds_write_b64 v83, v[15:16] offset:4992
	ds_write_b64 v83, v[19:20] offset:6240
	ds_write2_b64 v1, v[21:22], v[17:18] offset0:40 offset1:196
	ds_write2_b64 v2, v[13:14], v[9:10] offset0:96 offset1:252
	ds_write_b64 v83, v[5:6] offset:12480
	s_waitcnt lgkmcnt(0)
	s_barrier
	buffer_gl0_inv
	s_and_b32 exec_lo, exec_lo, vcc_lo
	s_cbranch_execz .LBB0_31
; %bb.30:
	v_add_co_u32 v71, s0, s14, v83
	v_add_co_ci_u32_e64 v72, null, s15, 0, s0
	s_clause 0x1
	global_load_dwordx2 v[27:28], v83, s[14:15]
	global_load_dwordx2 v[29:30], v83, s[14:15] offset:1056
	v_add_co_u32 v3, vcc_lo, 0x800, v71
	v_add_co_ci_u32_e32 v4, vcc_lo, 0, v72, vcc_lo
	v_add_co_u32 v5, vcc_lo, 0x1000, v71
	v_add_co_ci_u32_e32 v6, vcc_lo, 0, v72, vcc_lo
	;; [unrolled: 2-line block ×3, first 2 shown]
	s_clause 0x1
	global_load_dwordx2 v[31:32], v[3:4], off offset:64
	global_load_dwordx2 v[33:34], v[3:4], off offset:1120
	v_add_co_u32 v3, vcc_lo, 0x2000, v71
	v_add_co_ci_u32_e32 v4, vcc_lo, 0, v72, vcc_lo
	s_clause 0x3
	global_load_dwordx2 v[35:36], v[5:6], off offset:128
	global_load_dwordx2 v[37:38], v[5:6], off offset:1184
	;; [unrolled: 1-line block ×4, first 2 shown]
	v_add_co_u32 v5, vcc_lo, 0x2800, v71
	v_add_co_ci_u32_e32 v6, vcc_lo, 0, v72, vcc_lo
	s_clause 0x3
	global_load_dwordx2 v[43:44], v[3:4], off offset:256
	global_load_dwordx2 v[45:46], v[3:4], off offset:1312
	;; [unrolled: 1-line block ×4, first 2 shown]
	v_mad_u64_u32 v[3:4], null, s6, v60, 0
	v_mad_u64_u32 v[5:6], null, s4, v84, 0
	ds_read_b64 v[51:52], v83
	v_add_nc_u32_e32 v11, 0x400, v83
	v_add_nc_u32_e32 v15, 0xc00, v83
	;; [unrolled: 1-line block ×3, first 2 shown]
	v_mov_b32_e32 v0, v4
	s_mul_i32 s2, s5, 0x420
	v_mov_b32_e32 v4, v6
	ds_read2_b64 v[11:14], v11 offset0:4 offset1:136
	ds_read2_b64 v[15:18], v15 offset0:12 offset1:144
	v_mad_u64_u32 v[6:7], null, s7, v60, v[0:1]
	v_mad_u64_u32 v[7:8], null, s5, v84, v[4:5]
	ds_read2_b64 v[19:22], v19 offset0:20 offset1:152
	s_mul_hi_u32 s3, s4, 0x420
	s_mulk_i32 s4, 0x420
	s_add_i32 s3, s3, s2
	v_mov_b32_e32 v4, v6
	s_mov_b32 s0, 0x58e9ebb6
	v_mov_b32_e32 v6, v7
	s_mov_b32 s1, 0x3f431877
	v_lshlrev_b64 v[3:4], 3, v[3:4]
	v_lshlrev_b64 v[7:8], 3, v[5:6]
	v_add_co_u32 v0, vcc_lo, s12, v3
	v_add_co_ci_u32_e32 v9, vcc_lo, s13, v4, vcc_lo
	ds_read2_b64 v[3:6], v1 offset0:28 offset1:160
	v_add_co_u32 v0, vcc_lo, v0, v7
	v_add_co_ci_u32_e32 v1, vcc_lo, v9, v8, vcc_lo
	ds_read2_b64 v[7:10], v2 offset0:36 offset1:168
	v_add_nc_u32_e32 v2, 0x2c00, v83
	v_add_co_u32 v53, vcc_lo, v0, s4
	v_add_co_ci_u32_e32 v54, vcc_lo, s3, v1, vcc_lo
	ds_read2_b64 v[23:26], v2 offset0:44 offset1:176
	v_add_co_u32 v55, vcc_lo, v53, s4
	v_add_co_ci_u32_e32 v56, vcc_lo, s3, v54, vcc_lo
	v_add_co_u32 v57, vcc_lo, v55, s4
	v_add_co_ci_u32_e32 v58, vcc_lo, s3, v56, vcc_lo
	;; [unrolled: 2-line block ×7, first 2 shown]
	s_waitcnt vmcnt(11) lgkmcnt(6)
	v_mul_f32_e32 v2, v52, v28
	v_mul_f32_e32 v28, v51, v28
	s_waitcnt vmcnt(10) lgkmcnt(5)
	v_mul_f32_e32 v69, v12, v30
	v_mul_f32_e32 v30, v11, v30
	v_fmac_f32_e32 v2, v51, v27
	v_fma_f32 v51, v27, v52, -v28
	v_fmac_f32_e32 v69, v11, v29
	v_fma_f32 v70, v29, v12, -v30
	v_add_co_u32 v11, vcc_lo, v67, s4
	v_cvt_f64_f32_e32 v[27:28], v2
	v_cvt_f64_f32_e32 v[29:30], v51
	s_waitcnt vmcnt(9)
	v_mul_f32_e32 v2, v14, v32
	v_mul_f32_e32 v32, v13, v32
	s_waitcnt vmcnt(8) lgkmcnt(4)
	v_mul_f32_e32 v73, v16, v34
	v_mul_f32_e32 v34, v15, v34
	s_waitcnt vmcnt(7)
	v_mul_f32_e32 v74, v18, v36
	v_mul_f32_e32 v36, v17, v36
	s_waitcnt vmcnt(6) lgkmcnt(3)
	v_mul_f32_e32 v75, v20, v38
	v_mul_f32_e32 v38, v19, v38
	;; [unrolled: 6-line block ×3, first 2 shown]
	s_waitcnt vmcnt(3)
	v_mul_f32_e32 v78, v6, v44
	v_fmac_f32_e32 v2, v13, v31
	v_fma_f32 v13, v31, v14, -v32
	v_mul_f32_e32 v44, v5, v44
	s_waitcnt vmcnt(2) lgkmcnt(1)
	v_mul_f32_e32 v79, v8, v46
	v_mul_f32_e32 v46, v7, v46
	s_waitcnt vmcnt(1)
	v_mul_f32_e32 v80, v10, v48
	v_fmac_f32_e32 v73, v15, v33
	v_fma_f32 v14, v33, v16, -v34
	v_fmac_f32_e32 v74, v17, v35
	v_fma_f32 v15, v35, v18, -v36
	v_mul_f32_e32 v48, v9, v48
	v_fmac_f32_e32 v75, v19, v37
	v_fma_f32 v19, v37, v20, -v38
	v_cvt_f64_f32_e32 v[51:52], v69
	v_cvt_f64_f32_e32 v[69:70], v70
	s_waitcnt vmcnt(0) lgkmcnt(0)
	v_mul_f32_e32 v81, v24, v50
	v_mul_f32_e32 v50, v23, v50
	v_fmac_f32_e32 v76, v21, v39
	v_fma_f32 v31, v39, v22, -v40
	v_fmac_f32_e32 v77, v3, v41
	v_fma_f32 v33, v41, v4, -v42
	v_fmac_f32_e32 v78, v5, v43
	v_cvt_f64_f32_e32 v[2:3], v2
	v_cvt_f64_f32_e32 v[4:5], v13
	v_fma_f32 v37, v43, v6, -v44
	v_fmac_f32_e32 v79, v7, v45
	v_fma_f32 v41, v45, v8, -v46
	v_fmac_f32_e32 v80, v9, v47
	v_cvt_f64_f32_e32 v[6:7], v73
	v_cvt_f64_f32_e32 v[8:9], v14
	v_cvt_f64_f32_e32 v[13:14], v74
	v_cvt_f64_f32_e32 v[15:16], v15
	v_fma_f32 v10, v47, v10, -v48
	v_cvt_f64_f32_e32 v[17:18], v75
	v_cvt_f64_f32_e32 v[19:20], v19
	v_fmac_f32_e32 v81, v23, v49
	v_fma_f32 v49, v49, v24, -v50
	v_cvt_f64_f32_e32 v[21:22], v76
	v_cvt_f64_f32_e32 v[23:24], v31
	;; [unrolled: 1-line block ×12, first 2 shown]
	v_mul_f64 v[27:28], v[27:28], s[0:1]
	v_mul_f64 v[29:30], v[29:30], s[0:1]
	;; [unrolled: 1-line block ×24, first 2 shown]
	v_cvt_f32_f64_e32 v27, v[27:28]
	v_cvt_f32_f64_e32 v28, v[29:30]
	;; [unrolled: 1-line block ×20, first 2 shown]
	v_add_co_ci_u32_e32 v12, vcc_lo, s3, v68, vcc_lo
	v_cvt_f32_f64_e32 v21, v[43:44]
	v_cvt_f32_f64_e32 v22, v[45:46]
	;; [unrolled: 1-line block ×4, first 2 shown]
	v_add_co_u32 v31, vcc_lo, v11, s4
	v_add_co_ci_u32_e32 v32, vcc_lo, s3, v12, vcc_lo
	v_add_co_u32 v33, vcc_lo, 0x3000, v71
	v_add_co_ci_u32_e32 v34, vcc_lo, 0, v72, vcc_lo
	;; [unrolled: 2-line block ×3, first 2 shown]
	global_store_dwordx2 v[0:1], v[27:28], off
	global_store_dwordx2 v[53:54], v[29:30], off
	;; [unrolled: 1-line block ×12, first 2 shown]
	global_load_dwordx2 v[0:1], v[33:34], off offset:384
	s_waitcnt vmcnt(0)
	v_mul_f32_e32 v2, v26, v1
	v_mul_f32_e32 v1, v25, v1
	v_fmac_f32_e32 v2, v25, v0
	v_fma_f32 v3, v0, v26, -v1
	v_cvt_f64_f32_e32 v[0:1], v2
	v_cvt_f64_f32_e32 v[2:3], v3
	v_mul_f64 v[0:1], v[0:1], s[0:1]
	v_mul_f64 v[2:3], v[2:3], s[0:1]
	v_cvt_f32_f64_e32 v0, v[0:1]
	v_cvt_f32_f64_e32 v1, v[2:3]
	v_add_co_u32 v2, vcc_lo, v35, s4
	v_add_co_ci_u32_e32 v3, vcc_lo, s3, v36, vcc_lo
	global_store_dwordx2 v[2:3], v[0:1], off
.LBB0_31:
	s_endpgm
	.section	.rodata,"a",@progbits
	.p2align	6, 0x0
	.amdhsa_kernel bluestein_single_fwd_len1716_dim1_sp_op_CI_CI
		.amdhsa_group_segment_fixed_size 13728
		.amdhsa_private_segment_fixed_size 0
		.amdhsa_kernarg_size 104
		.amdhsa_user_sgpr_count 6
		.amdhsa_user_sgpr_private_segment_buffer 1
		.amdhsa_user_sgpr_dispatch_ptr 0
		.amdhsa_user_sgpr_queue_ptr 0
		.amdhsa_user_sgpr_kernarg_segment_ptr 1
		.amdhsa_user_sgpr_dispatch_id 0
		.amdhsa_user_sgpr_flat_scratch_init 0
		.amdhsa_user_sgpr_private_segment_size 0
		.amdhsa_wavefront_size32 1
		.amdhsa_uses_dynamic_stack 0
		.amdhsa_system_sgpr_private_segment_wavefront_offset 0
		.amdhsa_system_sgpr_workgroup_id_x 1
		.amdhsa_system_sgpr_workgroup_id_y 0
		.amdhsa_system_sgpr_workgroup_id_z 0
		.amdhsa_system_sgpr_workgroup_info 0
		.amdhsa_system_vgpr_workitem_id 0
		.amdhsa_next_free_vgpr 198
		.amdhsa_next_free_sgpr 16
		.amdhsa_reserve_vcc 1
		.amdhsa_reserve_flat_scratch 0
		.amdhsa_float_round_mode_32 0
		.amdhsa_float_round_mode_16_64 0
		.amdhsa_float_denorm_mode_32 3
		.amdhsa_float_denorm_mode_16_64 3
		.amdhsa_dx10_clamp 1
		.amdhsa_ieee_mode 1
		.amdhsa_fp16_overflow 0
		.amdhsa_workgroup_processor_mode 1
		.amdhsa_memory_ordered 1
		.amdhsa_forward_progress 0
		.amdhsa_shared_vgpr_count 0
		.amdhsa_exception_fp_ieee_invalid_op 0
		.amdhsa_exception_fp_denorm_src 0
		.amdhsa_exception_fp_ieee_div_zero 0
		.amdhsa_exception_fp_ieee_overflow 0
		.amdhsa_exception_fp_ieee_underflow 0
		.amdhsa_exception_fp_ieee_inexact 0
		.amdhsa_exception_int_div_zero 0
	.end_amdhsa_kernel
	.text
.Lfunc_end0:
	.size	bluestein_single_fwd_len1716_dim1_sp_op_CI_CI, .Lfunc_end0-bluestein_single_fwd_len1716_dim1_sp_op_CI_CI
                                        ; -- End function
	.section	.AMDGPU.csdata,"",@progbits
; Kernel info:
; codeLenInByte = 17664
; NumSgprs: 18
; NumVgprs: 198
; ScratchSize: 0
; MemoryBound: 0
; FloatMode: 240
; IeeeMode: 1
; LDSByteSize: 13728 bytes/workgroup (compile time only)
; SGPRBlocks: 2
; VGPRBlocks: 24
; NumSGPRsForWavesPerEU: 18
; NumVGPRsForWavesPerEU: 198
; Occupancy: 4
; WaveLimiterHint : 1
; COMPUTE_PGM_RSRC2:SCRATCH_EN: 0
; COMPUTE_PGM_RSRC2:USER_SGPR: 6
; COMPUTE_PGM_RSRC2:TRAP_HANDLER: 0
; COMPUTE_PGM_RSRC2:TGID_X_EN: 1
; COMPUTE_PGM_RSRC2:TGID_Y_EN: 0
; COMPUTE_PGM_RSRC2:TGID_Z_EN: 0
; COMPUTE_PGM_RSRC2:TIDIG_COMP_CNT: 0
	.text
	.p2alignl 6, 3214868480
	.fill 48, 4, 3214868480
	.type	__hip_cuid_9d11cc9152a0bee0,@object ; @__hip_cuid_9d11cc9152a0bee0
	.section	.bss,"aw",@nobits
	.globl	__hip_cuid_9d11cc9152a0bee0
__hip_cuid_9d11cc9152a0bee0:
	.byte	0                               ; 0x0
	.size	__hip_cuid_9d11cc9152a0bee0, 1

	.ident	"AMD clang version 19.0.0git (https://github.com/RadeonOpenCompute/llvm-project roc-6.4.0 25133 c7fe45cf4b819c5991fe208aaa96edf142730f1d)"
	.section	".note.GNU-stack","",@progbits
	.addrsig
	.addrsig_sym __hip_cuid_9d11cc9152a0bee0
	.amdgpu_metadata
---
amdhsa.kernels:
  - .args:
      - .actual_access:  read_only
        .address_space:  global
        .offset:         0
        .size:           8
        .value_kind:     global_buffer
      - .actual_access:  read_only
        .address_space:  global
        .offset:         8
        .size:           8
        .value_kind:     global_buffer
      - .actual_access:  read_only
        .address_space:  global
        .offset:         16
        .size:           8
        .value_kind:     global_buffer
      - .actual_access:  read_only
        .address_space:  global
        .offset:         24
        .size:           8
        .value_kind:     global_buffer
      - .actual_access:  read_only
        .address_space:  global
        .offset:         32
        .size:           8
        .value_kind:     global_buffer
      - .offset:         40
        .size:           8
        .value_kind:     by_value
      - .address_space:  global
        .offset:         48
        .size:           8
        .value_kind:     global_buffer
      - .address_space:  global
        .offset:         56
        .size:           8
        .value_kind:     global_buffer
      - .address_space:  global
        .offset:         64
        .size:           8
        .value_kind:     global_buffer
      - .address_space:  global
        .offset:         72
        .size:           8
        .value_kind:     global_buffer
      - .offset:         80
        .size:           4
        .value_kind:     by_value
      - .address_space:  global
        .offset:         88
        .size:           8
        .value_kind:     global_buffer
      - .address_space:  global
        .offset:         96
        .size:           8
        .value_kind:     global_buffer
    .group_segment_fixed_size: 13728
    .kernarg_segment_align: 8
    .kernarg_segment_size: 104
    .language:       OpenCL C
    .language_version:
      - 2
      - 0
    .max_flat_workgroup_size: 156
    .name:           bluestein_single_fwd_len1716_dim1_sp_op_CI_CI
    .private_segment_fixed_size: 0
    .sgpr_count:     18
    .sgpr_spill_count: 0
    .symbol:         bluestein_single_fwd_len1716_dim1_sp_op_CI_CI.kd
    .uniform_work_group_size: 1
    .uses_dynamic_stack: false
    .vgpr_count:     198
    .vgpr_spill_count: 0
    .wavefront_size: 32
    .workgroup_processor_mode: 1
amdhsa.target:   amdgcn-amd-amdhsa--gfx1030
amdhsa.version:
  - 1
  - 2
...

	.end_amdgpu_metadata
